;; amdgpu-corpus repo=ROCm/rocFFT kind=compiled arch=gfx906 opt=O3
	.text
	.amdgcn_target "amdgcn-amd-amdhsa--gfx906"
	.amdhsa_code_object_version 6
	.protected	fft_rtc_fwd_len408_factors_17_3_8_wgs_51_tpt_17_halfLds_half_ip_CI_unitstride_sbrr_R2C_dirReg ; -- Begin function fft_rtc_fwd_len408_factors_17_3_8_wgs_51_tpt_17_halfLds_half_ip_CI_unitstride_sbrr_R2C_dirReg
	.globl	fft_rtc_fwd_len408_factors_17_3_8_wgs_51_tpt_17_halfLds_half_ip_CI_unitstride_sbrr_R2C_dirReg
	.p2align	8
	.type	fft_rtc_fwd_len408_factors_17_3_8_wgs_51_tpt_17_halfLds_half_ip_CI_unitstride_sbrr_R2C_dirReg,@function
fft_rtc_fwd_len408_factors_17_3_8_wgs_51_tpt_17_halfLds_half_ip_CI_unitstride_sbrr_R2C_dirReg: ; @fft_rtc_fwd_len408_factors_17_3_8_wgs_51_tpt_17_halfLds_half_ip_CI_unitstride_sbrr_R2C_dirReg
; %bb.0:
	s_load_dwordx2 s[2:3], s[4:5], 0x50
	s_load_dwordx4 s[8:11], s[4:5], 0x0
	s_load_dwordx2 s[12:13], s[4:5], 0x18
	v_mul_u32_u24_e32 v1, 0xf10, v0
	v_lshrrev_b32_e32 v1, 16, v1
	v_mad_u64_u32 v[1:2], s[0:1], s6, 3, v[1:2]
	v_mov_b32_e32 v5, 0
	s_waitcnt lgkmcnt(0)
	v_cmp_lt_u64_e64 s[0:1], s[10:11], 2
	v_mov_b32_e32 v2, v5
	v_mov_b32_e32 v3, 0
	;; [unrolled: 1-line block ×3, first 2 shown]
	s_and_b64 vcc, exec, s[0:1]
	v_mov_b32_e32 v4, 0
	v_mov_b32_e32 v9, v1
	s_cbranch_vccnz .LBB0_8
; %bb.1:
	s_load_dwordx2 s[0:1], s[4:5], 0x10
	s_add_u32 s6, s12, 8
	s_addc_u32 s7, s13, 0
	v_mov_b32_e32 v3, 0
	v_mov_b32_e32 v8, v2
	s_waitcnt lgkmcnt(0)
	s_add_u32 s16, s0, 8
	s_mov_b64 s[14:15], 1
	v_mov_b32_e32 v4, 0
	s_addc_u32 s17, s1, 0
	v_mov_b32_e32 v7, v1
.LBB0_2:                                ; =>This Inner Loop Header: Depth=1
	s_load_dwordx2 s[18:19], s[16:17], 0x0
                                        ; implicit-def: $vgpr9_vgpr10
	s_waitcnt lgkmcnt(0)
	v_or_b32_e32 v6, s19, v8
	v_cmp_ne_u64_e32 vcc, 0, v[5:6]
	s_and_saveexec_b64 s[0:1], vcc
	s_xor_b64 s[20:21], exec, s[0:1]
	s_cbranch_execz .LBB0_4
; %bb.3:                                ;   in Loop: Header=BB0_2 Depth=1
	v_cvt_f32_u32_e32 v2, s18
	v_cvt_f32_u32_e32 v6, s19
	s_sub_u32 s0, 0, s18
	s_subb_u32 s1, 0, s19
	v_mac_f32_e32 v2, 0x4f800000, v6
	v_rcp_f32_e32 v2, v2
	v_mul_f32_e32 v2, 0x5f7ffffc, v2
	v_mul_f32_e32 v6, 0x2f800000, v2
	v_trunc_f32_e32 v6, v6
	v_mac_f32_e32 v2, 0xcf800000, v6
	v_cvt_u32_f32_e32 v6, v6
	v_cvt_u32_f32_e32 v2, v2
	v_mul_lo_u32 v9, s0, v6
	v_mul_hi_u32 v10, s0, v2
	v_mul_lo_u32 v12, s1, v2
	v_mul_lo_u32 v11, s0, v2
	v_add_u32_e32 v9, v10, v9
	v_add_u32_e32 v9, v9, v12
	v_mul_hi_u32 v10, v2, v11
	v_mul_lo_u32 v12, v2, v9
	v_mul_hi_u32 v14, v2, v9
	v_mul_hi_u32 v13, v6, v11
	v_mul_lo_u32 v11, v6, v11
	v_mul_hi_u32 v15, v6, v9
	v_add_co_u32_e32 v10, vcc, v10, v12
	v_addc_co_u32_e32 v12, vcc, 0, v14, vcc
	v_mul_lo_u32 v9, v6, v9
	v_add_co_u32_e32 v10, vcc, v10, v11
	v_addc_co_u32_e32 v10, vcc, v12, v13, vcc
	v_addc_co_u32_e32 v11, vcc, 0, v15, vcc
	v_add_co_u32_e32 v9, vcc, v10, v9
	v_addc_co_u32_e32 v10, vcc, 0, v11, vcc
	v_add_co_u32_e32 v2, vcc, v2, v9
	v_addc_co_u32_e32 v6, vcc, v6, v10, vcc
	v_mul_lo_u32 v9, s0, v6
	v_mul_hi_u32 v10, s0, v2
	v_mul_lo_u32 v11, s1, v2
	v_mul_lo_u32 v12, s0, v2
	v_add_u32_e32 v9, v10, v9
	v_add_u32_e32 v9, v9, v11
	v_mul_lo_u32 v13, v2, v9
	v_mul_hi_u32 v14, v2, v12
	v_mul_hi_u32 v15, v2, v9
	;; [unrolled: 1-line block ×3, first 2 shown]
	v_mul_lo_u32 v12, v6, v12
	v_mul_hi_u32 v10, v6, v9
	v_add_co_u32_e32 v13, vcc, v14, v13
	v_addc_co_u32_e32 v14, vcc, 0, v15, vcc
	v_mul_lo_u32 v9, v6, v9
	v_add_co_u32_e32 v12, vcc, v13, v12
	v_addc_co_u32_e32 v11, vcc, v14, v11, vcc
	v_addc_co_u32_e32 v10, vcc, 0, v10, vcc
	v_add_co_u32_e32 v9, vcc, v11, v9
	v_addc_co_u32_e32 v10, vcc, 0, v10, vcc
	v_add_co_u32_e32 v2, vcc, v2, v9
	v_addc_co_u32_e32 v6, vcc, v6, v10, vcc
	v_mad_u64_u32 v[9:10], s[0:1], v7, v6, 0
	v_mul_hi_u32 v11, v7, v2
	v_add_co_u32_e32 v13, vcc, v11, v9
	v_addc_co_u32_e32 v14, vcc, 0, v10, vcc
	v_mad_u64_u32 v[9:10], s[0:1], v8, v2, 0
	v_mad_u64_u32 v[11:12], s[0:1], v8, v6, 0
	v_add_co_u32_e32 v2, vcc, v13, v9
	v_addc_co_u32_e32 v2, vcc, v14, v10, vcc
	v_addc_co_u32_e32 v6, vcc, 0, v12, vcc
	v_add_co_u32_e32 v2, vcc, v2, v11
	v_addc_co_u32_e32 v6, vcc, 0, v6, vcc
	v_mul_lo_u32 v11, s19, v2
	v_mul_lo_u32 v12, s18, v6
	v_mad_u64_u32 v[9:10], s[0:1], s18, v2, 0
	v_add3_u32 v10, v10, v12, v11
	v_sub_u32_e32 v11, v8, v10
	v_mov_b32_e32 v12, s19
	v_sub_co_u32_e32 v9, vcc, v7, v9
	v_subb_co_u32_e64 v11, s[0:1], v11, v12, vcc
	v_subrev_co_u32_e64 v12, s[0:1], s18, v9
	v_subbrev_co_u32_e64 v11, s[0:1], 0, v11, s[0:1]
	v_cmp_le_u32_e64 s[0:1], s19, v11
	v_cndmask_b32_e64 v13, 0, -1, s[0:1]
	v_cmp_le_u32_e64 s[0:1], s18, v12
	v_cndmask_b32_e64 v12, 0, -1, s[0:1]
	v_cmp_eq_u32_e64 s[0:1], s19, v11
	v_cndmask_b32_e64 v11, v13, v12, s[0:1]
	v_add_co_u32_e64 v12, s[0:1], 2, v2
	v_addc_co_u32_e64 v13, s[0:1], 0, v6, s[0:1]
	v_add_co_u32_e64 v14, s[0:1], 1, v2
	v_addc_co_u32_e64 v15, s[0:1], 0, v6, s[0:1]
	v_subb_co_u32_e32 v10, vcc, v8, v10, vcc
	v_cmp_ne_u32_e64 s[0:1], 0, v11
	v_cmp_le_u32_e32 vcc, s19, v10
	v_cndmask_b32_e64 v11, v15, v13, s[0:1]
	v_cndmask_b32_e64 v13, 0, -1, vcc
	v_cmp_le_u32_e32 vcc, s18, v9
	v_cndmask_b32_e64 v9, 0, -1, vcc
	v_cmp_eq_u32_e32 vcc, s19, v10
	v_cndmask_b32_e32 v9, v13, v9, vcc
	v_cmp_ne_u32_e32 vcc, 0, v9
	v_cndmask_b32_e32 v10, v6, v11, vcc
	v_cndmask_b32_e64 v6, v14, v12, s[0:1]
	v_cndmask_b32_e32 v9, v2, v6, vcc
.LBB0_4:                                ;   in Loop: Header=BB0_2 Depth=1
	s_andn2_saveexec_b64 s[0:1], s[20:21]
	s_cbranch_execz .LBB0_6
; %bb.5:                                ;   in Loop: Header=BB0_2 Depth=1
	v_cvt_f32_u32_e32 v2, s18
	s_sub_i32 s20, 0, s18
	v_rcp_iflag_f32_e32 v2, v2
	v_mul_f32_e32 v2, 0x4f7ffffe, v2
	v_cvt_u32_f32_e32 v2, v2
	v_mul_lo_u32 v6, s20, v2
	v_mul_hi_u32 v6, v2, v6
	v_add_u32_e32 v2, v2, v6
	v_mul_hi_u32 v2, v7, v2
	v_mul_lo_u32 v6, v2, s18
	v_add_u32_e32 v9, 1, v2
	v_sub_u32_e32 v6, v7, v6
	v_subrev_u32_e32 v10, s18, v6
	v_cmp_le_u32_e32 vcc, s18, v6
	v_cndmask_b32_e32 v6, v6, v10, vcc
	v_cndmask_b32_e32 v2, v2, v9, vcc
	v_add_u32_e32 v9, 1, v2
	v_cmp_le_u32_e32 vcc, s18, v6
	v_cndmask_b32_e32 v9, v2, v9, vcc
	v_mov_b32_e32 v10, v5
.LBB0_6:                                ;   in Loop: Header=BB0_2 Depth=1
	s_or_b64 exec, exec, s[0:1]
	v_mul_lo_u32 v2, v10, s18
	v_mul_lo_u32 v6, v9, s19
	v_mad_u64_u32 v[11:12], s[0:1], v9, s18, 0
	s_load_dwordx2 s[0:1], s[6:7], 0x0
	s_add_u32 s14, s14, 1
	v_add3_u32 v2, v12, v6, v2
	v_sub_co_u32_e32 v6, vcc, v7, v11
	v_subb_co_u32_e32 v2, vcc, v8, v2, vcc
	s_waitcnt lgkmcnt(0)
	v_mul_lo_u32 v2, s0, v2
	v_mul_lo_u32 v7, s1, v6
	v_mad_u64_u32 v[3:4], s[0:1], s0, v6, v[3:4]
	s_addc_u32 s15, s15, 0
	s_add_u32 s6, s6, 8
	v_add3_u32 v4, v7, v4, v2
	v_mov_b32_e32 v6, s10
	v_mov_b32_e32 v7, s11
	s_addc_u32 s7, s7, 0
	v_cmp_ge_u64_e32 vcc, s[14:15], v[6:7]
	s_add_u32 s16, s16, 8
	s_addc_u32 s17, s17, 0
	s_cbranch_vccnz .LBB0_8
; %bb.7:                                ;   in Loop: Header=BB0_2 Depth=1
	v_mov_b32_e32 v7, v9
	v_mov_b32_e32 v8, v10
	s_branch .LBB0_2
.LBB0_8:
	s_lshl_b64 s[0:1], s[10:11], 3
	s_add_u32 s0, s12, s0
	s_addc_u32 s1, s13, s1
	s_load_dwordx2 s[0:1], s[0:1], 0x0
	s_mov_b32 s6, 0xaaaaaaab
	v_mul_hi_u32 v5, v1, s6
	s_waitcnt lgkmcnt(0)
	v_mul_lo_u32 v6, s0, v10
	v_mul_lo_u32 v7, s1, v9
	v_mad_u64_u32 v[2:3], s[0:1], s0, v9, v[3:4]
	s_load_dwordx2 s[0:1], s[4:5], 0x20
	s_mov_b32 s4, 0xf0f0f10
	v_lshrrev_b32_e32 v4, 1, v5
	v_mul_hi_u32 v5, v0, s4
	v_lshl_add_u32 v4, v4, 1, v4
	v_sub_u32_e32 v1, v1, v4
	s_waitcnt lgkmcnt(0)
	v_cmp_gt_u64_e32 vcc, s[0:1], v[9:10]
	v_mul_u32_u24_e32 v4, 17, v5
	v_cmp_le_u64_e64 s[0:1], s[0:1], v[9:10]
	v_sub_u32_e32 v0, v0, v4
	v_add3_u32 v3, v7, v3, v6
	v_add_u32_e32 v4, 17, v0
	s_and_saveexec_b64 s[4:5], s[0:1]
	s_xor_b64 s[0:1], exec, s[4:5]
; %bb.9:
	v_add_u32_e32 v4, 17, v0
; %bb.10:
	s_or_saveexec_b64 s[4:5], s[0:1]
	v_mul_u32_u24_e32 v1, 0x199, v1
	v_lshlrev_b64 v[2:3], 2, v[2:3]
	v_lshlrev_b32_e32 v41, 2, v1
	v_lshlrev_b32_e32 v39, 2, v0
	s_xor_b64 exec, exec, s[4:5]
	s_cbranch_execz .LBB0_12
; %bb.11:
	v_mov_b32_e32 v1, 0
	v_mov_b32_e32 v5, s3
	v_add_co_u32_e64 v7, s[0:1], s2, v2
	v_addc_co_u32_e64 v8, s[0:1], v5, v3, s[0:1]
	v_lshlrev_b64 v[5:6], 2, v[0:1]
	v_add_co_u32_e64 v5, s[0:1], v7, v5
	v_addc_co_u32_e64 v6, s[0:1], v8, v6, s[0:1]
	global_load_dword v1, v[5:6], off
	global_load_dword v7, v[5:6], off offset:68
	global_load_dword v8, v[5:6], off offset:136
	;; [unrolled: 1-line block ×23, first 2 shown]
	v_add3_u32 v5, 0, v41, v39
	v_add_u32_e32 v6, 0x400, v5
	s_waitcnt vmcnt(22)
	ds_write2_b32 v5, v1, v7 offset1:17
	s_waitcnt vmcnt(20)
	ds_write2_b32 v5, v8, v9 offset0:34 offset1:51
	s_waitcnt vmcnt(18)
	ds_write2_b32 v5, v10, v11 offset0:68 offset1:85
	;; [unrolled: 2-line block ×11, first 2 shown]
.LBB0_12:
	s_or_b64 exec, exec, s[4:5]
	v_add_u32_e32 v1, 0, v39
	v_add_u32_e32 v1, v1, v41
	;; [unrolled: 1-line block ×4, first 2 shown]
	s_waitcnt lgkmcnt(0)
	; wave barrier
	s_waitcnt lgkmcnt(0)
	v_add_u32_e32 v37, v38, v39
	ds_read2_b32 v[5:6], v1 offset0:17 offset1:24
	ds_read2_b32 v[23:24], v1 offset0:41 offset1:48
	;; [unrolled: 1-line block ×14, first 2 shown]
	ds_read_b32 v42, v1 offset:1604
	ds_read_b32 v44, v37
	ds_read2_b32 v[33:34], v40 offset0:97 offset1:104
	ds_read2_b32 v[35:36], v40 offset0:121 offset1:128
	s_mov_b32 s22, 0xb5c8
	s_movk_i32 s7, 0x3b76
	s_waitcnt lgkmcnt(2)
	v_pk_add_f16 v45, v44, v6
	v_pk_add_f16 v45, v45, v24
	;; [unrolled: 1-line block ×14, first 2 shown]
	s_waitcnt lgkmcnt(1)
	v_pk_add_f16 v45, v45, v34
	s_waitcnt lgkmcnt(0)
	v_pk_add_f16 v46, v36, v6
	v_pk_add_f16 v6, v6, v36 neg_lo:[0,1] neg_hi:[0,1]
	v_pk_add_f16 v45, v45, v36
	v_mul_f16_sdwa v36, v6, s22 dst_sel:DWORD dst_unused:UNUSED_PAD src0_sel:WORD_1 src1_sel:DWORD
	v_fma_f16 v47, v46, s7, -v36
	v_fma_f16 v36, v46, s7, v36
	s_mov_b32 s26, 0x3b7639e9
	v_add_f16_e32 v49, v44, v36
	v_pk_mul_f16 v36, v46, s26
	s_mov_b32 s27, 0xb964b5c8
	v_add_f16_e32 v48, v44, v47
	v_pk_fma_f16 v47, v6, s27, v36 op_sel:[0,0,1] op_sel_hi:[1,1,0] neg_lo:[1,0,0] neg_hi:[1,0,0]
	v_pk_fma_f16 v36, v6, s27, v36 op_sel:[0,0,1] op_sel_hi:[1,1,0]
	s_mov_b32 s6, 0xffff
	v_lshrrev_b32_e32 v51, 16, v46
	v_mul_f16_e32 v52, 0xb964, v6
	s_movk_i32 s10, 0x39e9
	v_bfi_b32 v50, s6, v36, v47
	v_pk_add_f16 v54, v44, v36 op_sel:[1,0] op_sel_hi:[0,1]
	v_fma_f16 v36, v51, s10, -v52
	s_mov_b32 s24, 0xbb29
	v_fma_f16 v53, v51, s10, v52
	v_add_f16_sdwa v52, v44, v36 dst_sel:DWORD dst_unused:UNUSED_PAD src0_sel:WORD_1 src1_sel:DWORD
	v_mul_f16_sdwa v36, v6, s24 dst_sel:DWORD dst_unused:UNUSED_PAD src0_sel:WORD_1 src1_sel:DWORD
	s_movk_i32 s11, 0x3722
	v_fma_f16 v55, v46, s11, -v36
	v_mul_f16_e32 v56, 0xbb29, v6
	v_fma_f16 v36, v46, s11, v36
	v_add_f16_e32 v58, v44, v36
	v_fma_f16 v36, v51, s11, -v56
	s_mov_b32 s25, 0xbbf7
	v_fma_f16 v57, v51, s11, v56
	v_add_f16_sdwa v56, v44, v36 dst_sel:DWORD dst_unused:UNUSED_PAD src0_sel:WORD_1 src1_sel:DWORD
	v_mul_f16_sdwa v36, v6, s25 dst_sel:DWORD dst_unused:UNUSED_PAD src0_sel:WORD_1 src1_sel:DWORD
	s_movk_i32 s13, 0x2de8
	v_fma_f16 v59, v46, s13, -v36
	v_mul_f16_e32 v60, 0xbbf7, v6
	v_fma_f16 v36, v46, s13, v36
	v_add_f16_e32 v62, v44, v36
	v_fma_f16 v36, v51, s13, -v60
	s_mov_b32 s12, 0xbbb2
	v_fma_f16 v61, v51, s13, v60
	v_add_f16_sdwa v60, v44, v36 dst_sel:DWORD dst_unused:UNUSED_PAD src0_sel:WORD_1 src1_sel:DWORD
	v_mul_f16_sdwa v36, v6, s12 dst_sel:DWORD dst_unused:UNUSED_PAD src0_sel:WORD_1 src1_sel:DWORD
	s_mov_b32 s15, 0xb461
	v_fma_f16 v63, v46, s15, -v36
	v_mul_f16_e32 v64, 0xbbb2, v6
	v_fma_f16 v36, v46, s15, v36
	v_add_f16_e32 v66, v44, v36
	v_fma_f16 v36, v51, s15, -v64
	s_mov_b32 s14, 0xba62
	v_fma_f16 v65, v51, s15, v64
	v_add_f16_sdwa v64, v44, v36 dst_sel:DWORD dst_unused:UNUSED_PAD src0_sel:WORD_1 src1_sel:DWORD
	v_mul_f16_sdwa v36, v6, s14 dst_sel:DWORD dst_unused:UNUSED_PAD src0_sel:WORD_1 src1_sel:DWORD
	s_mov_b32 s17, 0xb8d2
	;; [unrolled: 10-line block ×3, first 2 shown]
	v_fma_f16 v71, v46, s18, -v36
	v_mul_f16_e32 v72, 0xb836, v6
	v_fma_f16 v36, v46, s18, v36
	v_add_f16_e32 v74, v44, v36
	v_fma_f16 v36, v51, s18, -v72
	s_mov_b32 s23, 0xb964
	v_fma_f16 v73, v51, s18, v72
	v_add_f16_sdwa v51, v44, v36 dst_sel:DWORD dst_unused:UNUSED_PAD src0_sel:WORD_1 src1_sel:DWORD
	v_pk_add_f16 v36, v34, v24
	v_pk_add_f16 v24, v24, v34 neg_lo:[0,1] neg_hi:[0,1]
	v_mul_f16_sdwa v34, v24, s23 dst_sel:DWORD dst_unused:UNUSED_PAD src0_sel:WORD_1 src1_sel:DWORD
	v_fma_f16 v72, v36, s10, -v34
	v_fma_f16 v34, v36, s10, v34
	s_mov_b32 s29, 0x39e92de8
	v_add_f16_e32 v49, v34, v49
	v_pk_mul_f16 v34, v36, s29
	s_mov_b32 s30, 0xbbf7b964
	v_add_f16_e32 v72, v72, v48
	v_pk_fma_f16 v48, v24, s30, v34 op_sel:[0,0,1] op_sel_hi:[1,1,0] neg_lo:[1,0,0] neg_hi:[1,0,0]
	v_pk_fma_f16 v34, v24, s30, v34 op_sel:[0,0,1] op_sel_hi:[1,1,0]
	v_pk_add_f16 v50, v44, v50 op_sel:[1,0] op_sel_hi:[0,1]
	v_bfi_b32 v75, s6, v34, v48
	v_pk_add_f16 v75, v75, v50
	v_lshrrev_b32_e32 v50, 16, v36
	v_mul_f16_e32 v76, 0xbbf7, v24
	v_pk_add_f16 v54, v34, v54
	v_fma_f16 v34, v50, s13, -v76
	v_add_f16_e32 v52, v34, v52
	v_mul_f16_sdwa v34, v24, s14 dst_sel:DWORD dst_unused:UNUSED_PAD src0_sel:WORD_1 src1_sel:DWORD
	v_add_f16_e32 v55, v44, v55
	v_fma_f16 v77, v50, s13, v76
	v_fma_f16 v76, v36, s17, -v34
	v_add_f16_e32 v55, v76, v55
	v_mul_f16_e32 v76, 0xba62, v24
	v_fma_f16 v34, v36, s17, v34
	v_add_f16_e32 v58, v34, v58
	v_fma_f16 v34, v50, s17, -v76
	s_mov_b32 s19, 0xb1e1
	v_add_f16_sdwa v53, v44, v53 dst_sel:DWORD dst_unused:UNUSED_PAD src0_sel:WORD_1 src1_sel:DWORD
	v_add_f16_e32 v56, v34, v56
	v_mul_f16_sdwa v34, v24, s19 dst_sel:DWORD dst_unused:UNUSED_PAD src0_sel:WORD_1 src1_sel:DWORD
	s_mov_b32 s21, 0xbbdd
	v_add_f16_e32 v59, v44, v59
	v_add_f16_e32 v53, v77, v53
	v_fma_f16 v77, v50, s17, v76
	v_fma_f16 v76, v36, s21, -v34
	v_add_f16_e32 v59, v76, v59
	v_mul_f16_e32 v76, 0xb1e1, v24
	v_fma_f16 v34, v36, s21, v34
	v_add_f16_e32 v62, v34, v62
	v_fma_f16 v34, v50, s21, -v76
	s_movk_i32 s37, 0x3836
	v_add_f16_sdwa v57, v44, v57 dst_sel:DWORD dst_unused:UNUSED_PAD src0_sel:WORD_1 src1_sel:DWORD
	v_add_f16_e32 v60, v34, v60
	v_mul_f16_sdwa v34, v24, s37 dst_sel:DWORD dst_unused:UNUSED_PAD src0_sel:WORD_1 src1_sel:DWORD
	v_add_f16_e32 v63, v44, v63
	v_add_f16_e32 v57, v77, v57
	v_fma_f16 v77, v50, s21, v76
	v_fma_f16 v76, v36, s18, -v34
	v_add_f16_e32 v63, v76, v63
	v_mul_f16_e32 v76, 0x3836, v24
	v_fma_f16 v34, v36, s18, v34
	v_add_f16_e32 v66, v34, v66
	v_fma_f16 v34, v50, s18, -v76
	s_movk_i32 s33, 0x3bb2
	v_add_f16_sdwa v61, v44, v61 dst_sel:DWORD dst_unused:UNUSED_PAD src0_sel:WORD_1 src1_sel:DWORD
	v_add_f16_e32 v64, v34, v64
	v_mul_f16_sdwa v34, v24, s33 dst_sel:DWORD dst_unused:UNUSED_PAD src0_sel:WORD_1 src1_sel:DWORD
	;; [unrolled: 13-line block ×3, first 2 shown]
	v_add_f16_e32 v71, v44, v71
	v_add_f16_e32 v65, v77, v65
	v_fma_f16 v77, v50, s15, v76
	v_fma_f16 v76, v36, s11, -v34
	v_add_f16_e32 v71, v76, v71
	v_mul_f16_e32 v76, 0x3b29, v24
	v_fma_f16 v34, v36, s11, v34
	v_add_f16_e32 v74, v34, v74
	v_fma_f16 v34, v50, s11, -v76
	v_add_f16_e32 v51, v34, v51
	v_pk_add_f16 v34, v32, v22
	v_pk_add_f16 v22, v22, v32 neg_lo:[0,1] neg_hi:[0,1]
	v_add_f16_sdwa v69, v44, v69 dst_sel:DWORD dst_unused:UNUSED_PAD src0_sel:WORD_1 src1_sel:DWORD
	v_mul_f16_sdwa v32, v22, s24 dst_sel:DWORD dst_unused:UNUSED_PAD src0_sel:WORD_1 src1_sel:DWORD
	v_add_f16_e32 v69, v77, v69
	v_fma_f16 v77, v50, s11, v76
	v_fma_f16 v50, v34, s11, -v32
	v_fma_f16 v32, v34, s11, v32
	s_mov_b32 s34, 0x3722b8d2
	v_add_f16_e32 v49, v32, v49
	v_pk_mul_f16 v32, v34, s34
	s_mov_b32 s35, 0xba62bb29
	v_add_f16_e32 v72, v50, v72
	v_pk_fma_f16 v50, v22, s35, v32 op_sel:[0,0,1] op_sel_hi:[1,1,0] neg_lo:[1,0,0] neg_hi:[1,0,0]
	v_pk_fma_f16 v32, v22, s35, v32 op_sel:[0,0,1] op_sel_hi:[1,1,0]
	v_add_f16_sdwa v73, v44, v73 dst_sel:DWORD dst_unused:UNUSED_PAD src0_sel:WORD_1 src1_sel:DWORD
	v_bfi_b32 v76, s6, v32, v50
	v_add_f16_e32 v73, v77, v73
	v_pk_add_f16 v75, v76, v75
	v_lshrrev_b32_e32 v76, 16, v34
	v_mul_f16_e32 v77, 0xba62, v22
	v_pk_add_f16 v54, v32, v54
	v_fma_f16 v32, v76, s17, -v77
	s_movk_i32 s38, 0x31e1
	v_fma_f16 v78, v76, s17, v77
	v_add_f16_e32 v52, v32, v52
	v_mul_f16_sdwa v32, v22, s38 dst_sel:DWORD dst_unused:UNUSED_PAD src0_sel:WORD_1 src1_sel:DWORD
	v_add_f16_e32 v78, v78, v53
	v_fma_f16 v53, v34, s21, -v32
	v_add_f16_e32 v55, v53, v55
	v_mul_f16_e32 v53, 0x31e1, v22
	v_fma_f16 v32, v34, s21, v32
	v_add_f16_e32 v58, v32, v58
	v_fma_f16 v32, v76, s21, -v53
	v_add_f16_e32 v56, v32, v56
	v_mul_f16_sdwa v32, v22, s33 dst_sel:DWORD dst_unused:UNUSED_PAD src0_sel:WORD_1 src1_sel:DWORD
	v_fma_f16 v77, v76, s21, v53
	v_fma_f16 v53, v34, s15, -v32
	v_add_f16_e32 v59, v53, v59
	v_mul_f16_e32 v53, 0x3bb2, v22
	v_fma_f16 v32, v34, s15, v32
	v_add_f16_e32 v62, v32, v62
	v_fma_f16 v32, v76, s15, -v53
	s_movk_i32 s28, 0x3964
	v_add_f16_e32 v60, v32, v60
	v_mul_f16_sdwa v32, v22, s28 dst_sel:DWORD dst_unused:UNUSED_PAD src0_sel:WORD_1 src1_sel:DWORD
	v_add_f16_e32 v57, v77, v57
	v_fma_f16 v77, v76, s15, v53
	v_fma_f16 v53, v34, s10, -v32
	v_add_f16_e32 v63, v53, v63
	v_mul_f16_e32 v53, 0x3964, v22
	v_fma_f16 v32, v34, s10, v32
	v_add_f16_e32 v66, v32, v66
	v_fma_f16 v32, v76, s10, -v53
	v_add_f16_e32 v64, v32, v64
	v_mul_f16_sdwa v32, v22, s22 dst_sel:DWORD dst_unused:UNUSED_PAD src0_sel:WORD_1 src1_sel:DWORD
	v_add_f16_e32 v61, v77, v61
	v_fma_f16 v77, v76, s10, v53
	v_fma_f16 v53, v34, s7, -v32
	v_add_f16_e32 v67, v53, v67
	v_mul_f16_e32 v53, 0xb5c8, v22
	v_fma_f16 v32, v34, s7, v32
	v_add_f16_e32 v70, v32, v70
	v_fma_f16 v32, v76, s7, -v53
	;; [unrolled: 10-line block ×3, first 2 shown]
	v_add_f16_e32 v51, v32, v51
	v_pk_add_f16 v32, v30, v20
	v_pk_add_f16 v20, v20, v30 neg_lo:[0,1] neg_hi:[0,1]
	v_mul_f16_sdwa v30, v20, s25 dst_sel:DWORD dst_unused:UNUSED_PAD src0_sel:WORD_1 src1_sel:DWORD
	v_add_f16_e32 v69, v77, v69
	v_fma_f16 v77, v76, s13, v53
	v_fma_f16 v53, v32, s13, -v30
	v_fma_f16 v30, v32, s13, v30
	s_mov_b32 s39, 0x2de8bbdd
	v_add_f16_e32 v49, v30, v49
	v_pk_mul_f16 v30, v32, s39
	s_mov_b32 s40, 0xb1e1bbf7
	v_add_f16_e32 v72, v53, v72
	v_pk_fma_f16 v53, v20, s40, v30 op_sel:[0,0,1] op_sel_hi:[1,1,0] neg_lo:[1,0,0] neg_hi:[1,0,0]
	v_pk_fma_f16 v30, v20, s40, v30 op_sel:[0,0,1] op_sel_hi:[1,1,0]
	v_bfi_b32 v76, s6, v30, v53
	v_add_f16_e32 v73, v77, v73
	v_pk_add_f16 v75, v76, v75
	v_lshrrev_b32_e32 v76, 16, v32
	v_mul_f16_e32 v77, 0xb1e1, v20
	v_pk_add_f16 v54, v30, v54
	v_fma_f16 v30, v76, s21, -v77
	v_add_f16_e32 v52, v30, v52
	v_mul_f16_sdwa v30, v20, s33 dst_sel:DWORD dst_unused:UNUSED_PAD src0_sel:WORD_1 src1_sel:DWORD
	v_fma_f16 v79, v76, s21, v77
	v_fma_f16 v77, v32, s15, -v30
	v_add_f16_e32 v55, v77, v55
	v_mul_f16_e32 v77, 0x3bb2, v20
	v_fma_f16 v30, v32, s15, v30
	v_add_f16_e32 v58, v30, v58
	v_fma_f16 v30, v76, s15, -v77
	s_movk_i32 s31, 0x35c8
	v_add_f16_e32 v56, v30, v56
	v_mul_f16_sdwa v30, v20, s31 dst_sel:DWORD dst_unused:UNUSED_PAD src0_sel:WORD_1 src1_sel:DWORD
	v_add_f16_e32 v78, v79, v78
	v_fma_f16 v79, v76, s15, v77
	v_fma_f16 v77, v32, s7, -v30
	v_add_f16_e32 v59, v77, v59
	v_mul_f16_e32 v77, 0x35c8, v20
	v_fma_f16 v30, v32, s7, v30
	v_add_f16_e32 v62, v30, v62
	v_fma_f16 v30, v76, s7, -v77
	v_add_f16_e32 v60, v30, v60
	v_mul_f16_sdwa v30, v20, s24 dst_sel:DWORD dst_unused:UNUSED_PAD src0_sel:WORD_1 src1_sel:DWORD
	v_add_f16_e32 v57, v79, v57
	v_fma_f16 v79, v76, s7, v77
	v_fma_f16 v77, v32, s11, -v30
	v_add_f16_e32 v63, v77, v63
	v_mul_f16_e32 v77, 0xbb29, v20
	v_fma_f16 v30, v32, s11, v30
	v_add_f16_e32 v66, v30, v66
	v_fma_f16 v30, v76, s11, -v77
	;; [unrolled: 10-line block ×3, first 2 shown]
	s_movk_i32 s43, 0x3a62
	v_add_f16_e32 v68, v30, v68
	v_mul_f16_sdwa v30, v20, s43 dst_sel:DWORD dst_unused:UNUSED_PAD src0_sel:WORD_1 src1_sel:DWORD
	v_add_f16_e32 v65, v79, v65
	v_fma_f16 v79, v76, s18, v77
	v_fma_f16 v77, v32, s17, -v30
	v_add_f16_e32 v71, v77, v71
	v_mul_f16_e32 v77, 0x3a62, v20
	v_fma_f16 v30, v32, s17, v30
	v_add_f16_e32 v74, v30, v74
	v_fma_f16 v30, v76, s17, -v77
	v_add_f16_e32 v51, v30, v51
	v_pk_add_f16 v30, v28, v18
	v_pk_add_f16 v28, v18, v28 neg_lo:[0,1] neg_hi:[0,1]
	v_mul_f16_sdwa v18, v28, s12 dst_sel:DWORD dst_unused:UNUSED_PAD src0_sel:WORD_1 src1_sel:DWORD
	v_add_f16_e32 v69, v79, v69
	v_fma_f16 v79, v76, s17, v77
	v_fma_f16 v76, v30, s15, -v18
	v_fma_f16 v18, v30, s15, v18
	s_mov_b32 s41, 0xb461bacd
	v_add_f16_e32 v18, v18, v49
	v_pk_mul_f16 v49, v30, s41
	s_mov_b32 s42, 0x3836bbb2
	v_add_f16_e32 v72, v76, v72
	v_pk_fma_f16 v76, v28, s42, v49 op_sel:[0,0,1] op_sel_hi:[1,1,0] neg_lo:[1,0,0] neg_hi:[1,0,0]
	v_pk_fma_f16 v49, v28, s42, v49 op_sel:[0,0,1] op_sel_hi:[1,1,0]
	v_bfi_b32 v77, s6, v49, v76
	v_add_f16_e32 v73, v79, v73
	v_pk_add_f16 v75, v77, v75
	v_lshrrev_b32_e32 v77, 16, v30
	v_mul_f16_e32 v79, 0x3836, v28
	v_pk_add_f16 v54, v49, v54
	v_fma_f16 v49, v77, s18, -v79
	v_add_f16_e32 v52, v49, v52
	v_mul_f16_sdwa v49, v28, s28 dst_sel:DWORD dst_unused:UNUSED_PAD src0_sel:WORD_1 src1_sel:DWORD
	v_fma_f16 v80, v77, s18, v79
	v_fma_f16 v79, v30, s10, -v49
	v_add_f16_e32 v55, v79, v55
	v_mul_f16_e32 v79, 0x3964, v28
	v_fma_f16 v49, v30, s10, v49
	v_add_f16_e32 v58, v49, v58
	v_fma_f16 v49, v77, s10, -v79
	v_add_f16_e32 v56, v49, v56
	v_mul_f16_sdwa v49, v28, s24 dst_sel:DWORD dst_unused:UNUSED_PAD src0_sel:WORD_1 src1_sel:DWORD
	v_add_f16_e32 v78, v80, v78
	v_fma_f16 v80, v77, s10, v79
	v_fma_f16 v79, v30, s11, -v49
	v_add_f16_e32 v59, v79, v59
	v_mul_f16_e32 v79, 0xbb29, v28
	v_fma_f16 v49, v30, s11, v49
	v_add_f16_e32 v62, v49, v62
	v_fma_f16 v49, v77, s11, -v79
	v_add_f16_e32 v60, v49, v60
	v_mul_f16_sdwa v49, v28, s19 dst_sel:DWORD dst_unused:UNUSED_PAD src0_sel:WORD_1 src1_sel:DWORD
	v_add_f16_e32 v57, v80, v57
	v_fma_f16 v80, v77, s11, v79
	v_fma_f16 v79, v30, s21, -v49
	v_add_f16_e32 v63, v79, v63
	v_mul_f16_e32 v79, 0xb1e1, v28
	v_fma_f16 v49, v30, s21, v49
	v_add_f16_e32 v66, v49, v66
	v_fma_f16 v49, v77, s21, -v79
	s_movk_i32 s36, 0x3bf7
	v_add_f16_e32 v64, v49, v64
	v_mul_f16_sdwa v49, v28, s36 dst_sel:DWORD dst_unused:UNUSED_PAD src0_sel:WORD_1 src1_sel:DWORD
	v_add_f16_e32 v61, v80, v61
	v_fma_f16 v80, v77, s21, v79
	v_fma_f16 v79, v30, s13, -v49
	v_add_f16_e32 v67, v79, v67
	v_mul_f16_e32 v79, 0x3bf7, v28
	v_fma_f16 v49, v30, s13, v49
	v_add_f16_e32 v70, v49, v70
	v_fma_f16 v49, v77, s13, -v79
	v_add_f16_e32 v68, v49, v68
	v_mul_f16_sdwa v49, v28, s22 dst_sel:DWORD dst_unused:UNUSED_PAD src0_sel:WORD_1 src1_sel:DWORD
	v_add_f16_e32 v65, v80, v65
	v_fma_f16 v80, v77, s13, v79
	v_fma_f16 v79, v30, s7, -v49
	v_add_f16_e32 v71, v79, v71
	v_mul_f16_e32 v79, 0xb5c8, v28
	v_fma_f16 v49, v30, s7, v49
	v_add_f16_e32 v74, v49, v74
	v_fma_f16 v49, v77, s7, -v79
	v_add_f16_e32 v51, v49, v51
	v_pk_add_f16 v49, v26, v16
	v_pk_add_f16 v26, v16, v26 neg_lo:[0,1] neg_hi:[0,1]
	v_mul_f16_sdwa v16, v26, s14 dst_sel:DWORD dst_unused:UNUSED_PAD src0_sel:WORD_1 src1_sel:DWORD
	v_add_f16_e32 v69, v80, v69
	v_fma_f16 v80, v77, s7, v79
	v_fma_f16 v77, v49, s17, -v16
	v_fma_f16 v16, v49, s17, v16
	s_mov_b32 s44, 0xb8d2b461
	v_add_f16_e32 v72, v77, v72
	v_add_f16_e32 v77, v16, v18
	v_pk_mul_f16 v16, v49, s44
	s_mov_b32 s45, 0x3bb2ba62
	v_pk_fma_f16 v79, v26, s45, v16 op_sel:[0,0,1] op_sel_hi:[1,1,0] neg_lo:[1,0,0] neg_hi:[1,0,0]
	v_pk_fma_f16 v16, v26, s45, v16 op_sel:[0,0,1] op_sel_hi:[1,1,0]
	v_bfi_b32 v18, s6, v16, v79
	v_add_f16_e32 v73, v80, v73
	v_pk_add_f16 v75, v18, v75
	v_lshrrev_b32_e32 v80, 16, v49
	v_mul_f16_e32 v18, 0x3bb2, v26
	v_fma_f16 v81, v80, s15, v18
	v_fma_f16 v18, v80, s15, -v18
	v_add_f16_e32 v52, v18, v52
	v_mul_f16_sdwa v18, v26, s22 dst_sel:DWORD dst_unused:UNUSED_PAD src0_sel:WORD_1 src1_sel:DWORD
	v_pk_add_f16 v16, v16, v54
	v_fma_f16 v54, v49, s7, -v18
	v_add_f16_e32 v78, v81, v78
	v_add_f16_e32 v81, v54, v55
	v_mul_f16_e32 v54, 0xb5c8, v26
	v_fma_f16 v18, v49, s7, v18
	v_fma_f16 v55, v80, s7, v54
	v_add_f16_e32 v58, v18, v58
	v_fma_f16 v18, v80, s7, -v54
	v_mul_f16_sdwa v54, v26, s16 dst_sel:DWORD dst_unused:UNUSED_PAD src0_sel:WORD_1 src1_sel:DWORD
	v_add_f16_e32 v57, v55, v57
	v_fma_f16 v55, v49, s18, -v54
	v_add_f16_e32 v18, v18, v56
	v_add_f16_e32 v56, v55, v59
	v_mul_f16_e32 v55, 0xb836, v26
	v_fma_f16 v59, v80, s18, v55
	v_fma_f16 v54, v49, s18, v54
	v_add_f16_e32 v59, v59, v61
	v_add_f16_e32 v61, v54, v62
	v_fma_f16 v54, v80, s18, -v55
	v_add_f16_e32 v60, v54, v60
	v_mul_f16_sdwa v54, v26, s36 dst_sel:DWORD dst_unused:UNUSED_PAD src0_sel:WORD_1 src1_sel:DWORD
	v_fma_f16 v55, v49, s13, -v54
	v_add_f16_e32 v62, v55, v63
	v_mul_f16_e32 v55, 0x3bf7, v26
	v_fma_f16 v63, v80, s13, v55
	v_fma_f16 v54, v49, s13, v54
	v_add_f16_e32 v63, v63, v65
	v_add_f16_e32 v65, v54, v66
	v_fma_f16 v54, v80, s13, -v55
	v_add_f16_e32 v64, v54, v64
	v_mul_f16_sdwa v54, v26, s23 dst_sel:DWORD dst_unused:UNUSED_PAD src0_sel:WORD_1 src1_sel:DWORD
	v_fma_f16 v55, v49, s10, -v54
	;; [unrolled: 10-line block ×3, first 2 shown]
	v_add_f16_e32 v70, v55, v71
	v_mul_f16_e32 v55, 0xb1e1, v26
	v_fma_f16 v71, v80, s21, v55
	v_fma_f16 v54, v49, s21, v54
	v_add_f16_e32 v71, v71, v73
	v_add_f16_e32 v73, v54, v74
	v_fma_f16 v54, v80, s21, -v55
	v_add_f16_e32 v51, v54, v51
	v_pk_add_f16 v54, v14, v12 neg_lo:[0,1] neg_hi:[0,1]
	v_pk_add_f16 v55, v12, v14
	v_mul_f16_sdwa v12, v54, s16 dst_sel:DWORD dst_unused:UNUSED_PAD src0_sel:WORD_1 src1_sel:DWORD
	v_fma_f16 v14, v55, s18, -v12
	v_fma_f16 v12, v55, s18, v12
	s_mov_b32 s47, 0xbacd3722
	v_add_f16_e32 v74, v12, v77
	v_pk_mul_f16 v12, v55, s47
	s_mov_b32 s48, 0x3b29b836
	v_pk_fma_f16 v77, v54, s48, v12 op_sel:[0,0,1] op_sel_hi:[1,1,0] neg_lo:[1,0,0] neg_hi:[1,0,0]
	v_pk_fma_f16 v12, v54, s48, v12 op_sel:[0,0,1] op_sel_hi:[1,1,0]
	v_add_f16_e32 v72, v14, v72
	v_bfi_b32 v14, s6, v12, v77
	v_pk_add_f16 v75, v14, v75
	v_lshrrev_b32_e32 v80, 16, v55
	v_mul_f16_e32 v14, 0x3b29, v54
	v_fma_f16 v82, v80, s11, v14
	v_fma_f16 v14, v80, s11, -v14
	v_add_f16_e32 v78, v82, v78
	v_add_f16_e32 v82, v14, v52
	v_mul_f16_sdwa v14, v54, s25 dst_sel:DWORD dst_unused:UNUSED_PAD src0_sel:WORD_1 src1_sel:DWORD
	v_fma_f16 v52, v55, s13, -v14
	v_add_f16_e32 v81, v52, v81
	v_mul_f16_e32 v52, 0xbbf7, v54
	v_fma_f16 v14, v55, s13, v14
	v_fma_f16 v83, v80, s13, v52
	v_add_f16_e32 v58, v14, v58
	v_fma_f16 v14, v80, s13, -v52
	v_mul_f16_sdwa v52, v54, s43 dst_sel:DWORD dst_unused:UNUSED_PAD src0_sel:WORD_1 src1_sel:DWORD
	v_add_f16_e32 v57, v83, v57
	v_fma_f16 v83, v55, s17, -v52
	v_add_f16_e32 v56, v83, v56
	v_mul_f16_e32 v83, 0x3a62, v54
	v_fma_f16 v52, v55, s17, v52
	v_add_f16_e32 v61, v52, v61
	v_fma_f16 v52, v80, s17, -v83
	v_add_f16_e32 v60, v52, v60
	v_mul_f16_sdwa v52, v54, s22 dst_sel:DWORD dst_unused:UNUSED_PAD src0_sel:WORD_1 src1_sel:DWORD
	v_fma_f16 v84, v80, s17, v83
	v_fma_f16 v83, v55, s7, -v52
	v_add_f16_e32 v62, v83, v62
	v_mul_f16_e32 v83, 0xb5c8, v54
	v_fma_f16 v52, v55, s7, v52
	v_add_f16_e32 v65, v52, v65
	v_fma_f16 v52, v80, s7, -v83
	v_add_f16_e32 v64, v52, v64
	v_mul_f16_sdwa v52, v54, s19 dst_sel:DWORD dst_unused:UNUSED_PAD src0_sel:WORD_1 src1_sel:DWORD
	v_add_f16_e32 v59, v84, v59
	v_fma_f16 v84, v80, s7, v83
	v_fma_f16 v83, v55, s21, -v52
	v_add_f16_e32 v66, v83, v66
	v_mul_f16_e32 v83, 0xb1e1, v54
	v_fma_f16 v52, v55, s21, v52
	v_add_f16_e32 v69, v52, v69
	v_fma_f16 v52, v80, s21, -v83
	v_add_f16_e32 v68, v52, v68
	v_mul_f16_sdwa v52, v54, s28 dst_sel:DWORD dst_unused:UNUSED_PAD src0_sel:WORD_1 src1_sel:DWORD
	v_add_f16_e32 v63, v84, v63
	v_fma_f16 v84, v80, s21, v83
	v_fma_f16 v83, v55, s10, -v52
	v_add_f16_e32 v70, v83, v70
	v_mul_f16_e32 v83, 0x3964, v54
	v_add_f16_e32 v67, v84, v67
	v_fma_f16 v84, v80, s10, v83
	v_add_f16_e32 v71, v84, v71
	v_fma_f16 v52, v55, s10, v52
	v_pk_add_f16 v84, v10, v8 neg_lo:[0,1] neg_hi:[0,1]
	v_add_f16_e32 v73, v52, v73
	v_fma_f16 v52, v80, s10, -v83
	v_pk_add_f16 v83, v8, v10
	v_mul_f16_sdwa v8, v84, s19 dst_sel:DWORD dst_unused:UNUSED_PAD src0_sel:WORD_1 src1_sel:DWORD
	v_fma_f16 v10, v83, s21, -v8
	v_add_f16_e32 v72, v10, v72
	v_add_f16_sdwa v10, v44, v47 dst_sel:DWORD dst_unused:UNUSED_PAD src0_sel:WORD_1 src1_sel:DWORD
	v_add_f16_e32 v10, v48, v10
	v_add_f16_e32 v10, v50, v10
	s_mov_b32 s49, 0xbbdd3b76
	v_add_f16_e32 v10, v53, v10
	v_add_f16_e32 v80, v52, v51
	v_fma_f16 v8, v83, s21, v8
	v_pk_mul_f16 v51, v83, s49
	s_mov_b32 s46, 0x35c8b1e1
	v_add_f16_e32 v10, v76, v10
	v_add_f16_e32 v8, v8, v74
	v_pk_fma_f16 v74, v84, s46, v51 op_sel:[0,0,1] op_sel_hi:[1,1,0] neg_lo:[1,0,0] neg_hi:[1,0,0]
	v_add_f16_e32 v10, v79, v10
	v_pk_fma_f16 v47, v84, s46, v51 op_sel:[0,0,1] op_sel_hi:[1,1,0]
	v_add_f16_e32 v10, v77, v10
	v_bfi_b32 v47, s6, v47, v74
	v_add_f16_e32 v10, v74, v10
	v_pk_add_f16 v74, v47, v75
	v_lshrrev_b32_e32 v75, 16, v83
	v_mul_f16_e32 v47, 0x35c8, v84
	v_fma_f16 v48, v75, s7, v47
	v_mul_f16_sdwa v50, v84, s16 dst_sel:DWORD dst_unused:UNUSED_PAD src0_sel:WORD_1 src1_sel:DWORD
	v_add_f16_e32 v76, v48, v78
	v_fma_f16 v48, v83, s18, -v50
	v_add_f16_e32 v77, v48, v81
	v_mul_f16_e32 v48, 0xbacd, v75
	v_fma_f16 v78, v84, s16, v48
	v_add_f16_e32 v78, v78, v57
	v_fma_f16 v50, v83, s18, v50
	v_mul_f16_sdwa v57, v84, s28 dst_sel:DWORD dst_unused:UNUSED_PAD src0_sel:WORD_1 src1_sel:DWORD
	v_add_f16_e32 v50, v50, v58
	v_fma_f16 v58, v83, s10, -v57
	v_add_f16_e32 v79, v58, v56
	v_mul_f16_e32 v58, 0x3964, v84
	v_fma_f16 v56, v75, s10, v58
	v_add_f16_e32 v81, v56, v59
	v_fma_f16 v56, v83, s10, v57
	v_fma_f16 v57, v75, s10, -v58
	v_mul_f16_sdwa v58, v84, s14 dst_sel:DWORD dst_unused:UNUSED_PAD src0_sel:WORD_1 src1_sel:DWORD
	v_fma_f16 v59, v83, s17, -v58
	v_add_f16_e32 v57, v57, v60
	v_add_f16_e32 v60, v59, v62
	v_mul_f16_e32 v59, 0xba62, v84
	v_add_f16_e32 v56, v56, v61
	v_fma_f16 v61, v75, s17, v59
	v_fma_f16 v59, v75, s17, -v59
	v_fma_f16 v58, v83, s17, v58
	v_add_f16_e32 v59, v59, v64
	v_mul_f16_sdwa v62, v84, s20 dst_sel:DWORD dst_unused:UNUSED_PAD src0_sel:WORD_1 src1_sel:DWORD
	v_mul_f16_e32 v64, 0x3b29, v84
	v_add_f16_e32 v61, v61, v63
	v_add_f16_e32 v58, v58, v65
	v_fma_f16 v63, v83, s11, -v62
	v_fma_f16 v65, v75, s11, v64
	v_fma_f16 v64, v75, s11, -v64
	v_add_f16_e32 v63, v63, v66
	v_fma_f16 v62, v83, s11, v62
	v_add_f16_e32 v64, v64, v68
	v_mul_f16_sdwa v66, v84, s12 dst_sel:DWORD dst_unused:UNUSED_PAD src0_sel:WORD_1 src1_sel:DWORD
	v_mul_f16_e32 v68, 0xbbb2, v84
	s_movk_i32 s0, 0x44
	v_add_f16_e32 v65, v65, v67
	v_add_f16_e32 v62, v62, v69
	v_fma_f16 v67, v83, s15, -v66
	v_fma_f16 v69, v75, s15, v68
	v_mad_u32_u24 v43, v0, s0, v38
	v_add_f16_e32 v67, v67, v70
	v_add_f16_e32 v69, v69, v71
	v_pack_b32_f16 v63, v63, v65
	v_pack_b32_f16 v60, v60, v61
	s_waitcnt lgkmcnt(0)
	; wave barrier
	ds_write2_b32 v43, v60, v63 offset0:5 offset1:6
	v_pack_b32_f16 v60, v67, v69
	ds_write2_b32 v43, v45, v60 offset1:7
	v_pk_mul_f16 v45, v46, s21 op_sel_hi:[1,0]
	v_pk_fma_f16 v46, v6, s19, v45 op_sel:[0,0,1] op_sel_hi:[1,0,0] neg_lo:[1,0,0] neg_hi:[1,0,0]
	v_pk_fma_f16 v6, v6, s19, v45 op_sel:[0,0,1] op_sel_hi:[1,0,0]
	v_pk_mul_f16 v36, v36, s7 op_sel_hi:[1,0]
	v_pk_add_f16 v46, v44, v46 op_sel:[1,0] op_sel_hi:[0,1]
	v_pk_add_f16 v6, v44, v6 op_sel:[1,0] op_sel_hi:[0,1]
	v_pk_fma_f16 v44, v24, s31, v36 op_sel:[0,0,1] op_sel_hi:[1,0,0] neg_lo:[1,0,0] neg_hi:[1,0,0]
	v_pk_fma_f16 v24, v24, s31, v36 op_sel:[0,0,1] op_sel_hi:[1,0,0]
	v_pk_add_f16 v6, v24, v6
	v_pk_mul_f16 v24, v34, s18 op_sel_hi:[1,0]
	v_pk_fma_f16 v34, v22, s16, v24 op_sel:[0,0,1] op_sel_hi:[1,0,0] neg_lo:[1,0,0] neg_hi:[1,0,0]
	v_pk_fma_f16 v22, v22, s16, v24 op_sel:[0,0,1] op_sel_hi:[1,0,0]
	v_pk_add_f16 v6, v22, v6
	v_pk_mul_f16 v22, v32, s10 op_sel_hi:[1,0]
	v_pk_fma_f16 v24, v20, s28, v22 op_sel:[0,0,1] op_sel_hi:[1,0,0] neg_lo:[1,0,0] neg_hi:[1,0,0]
	v_pk_fma_f16 v20, v20, s28, v22 op_sel:[0,0,1] op_sel_hi:[1,0,0]
	v_pk_add_f16 v44, v44, v46
	v_pk_add_f16 v6, v20, v6
	v_pk_mul_f16 v20, v30, s17 op_sel_hi:[1,0]
	v_pk_add_f16 v34, v34, v44
	v_pk_fma_f16 v22, v28, s14, v20 op_sel:[0,0,1] op_sel_hi:[1,0,0] neg_lo:[1,0,0] neg_hi:[1,0,0]
	v_pk_fma_f16 v20, v28, s14, v20 op_sel:[0,0,1] op_sel_hi:[1,0,0]
	v_pk_add_f16 v24, v24, v34
	v_pk_add_f16 v6, v20, v6
	v_pk_mul_f16 v20, v49, s11 op_sel_hi:[1,0]
	v_pk_add_f16 v22, v22, v24
	v_pk_fma_f16 v24, v26, s20, v20 op_sel:[0,0,1] op_sel_hi:[1,0,0] neg_lo:[1,0,0] neg_hi:[1,0,0]
	v_pk_fma_f16 v20, v26, s20, v20 op_sel:[0,0,1] op_sel_hi:[1,0,0]
	v_pk_add_f16 v6, v20, v6
	v_pk_mul_f16 v20, v55, s15 op_sel_hi:[1,0]
	v_pk_add_f16 v22, v24, v22
	v_pk_fma_f16 v24, v54, s12, v20 op_sel:[0,0,1] op_sel_hi:[1,0,0] neg_lo:[1,0,0] neg_hi:[1,0,0]
	v_pk_fma_f16 v20, v54, s12, v20 op_sel:[0,0,1] op_sel_hi:[1,0,0]
	;; [unrolled: 5-line block ×3, first 2 shown]
	v_fma_f16 v66, v83, s15, v66
	v_fma_f16 v68, v75, s15, -v68
	v_pk_add_f16 v22, v24, v22
	v_pk_add_f16 v6, v20, v6
	v_add_f16_e32 v66, v66, v73
	v_add_f16_e32 v68, v68, v80
	v_alignbit_b32 v20, v22, v6, 16
	v_alignbit_b32 v6, v6, v22, 16
	ds_write2_b32 v43, v6, v20 offset0:8 offset1:9
	v_pack_b32_f16 v6, v62, v64
	v_pack_b32_f16 v20, v66, v68
	v_pk_mul_f16 v52, v84, s46
	ds_write2_b32 v43, v20, v6 offset0:10 offset1:11
	v_pack_b32_f16 v6, v56, v57
	v_pack_b32_f16 v20, v58, v59
	v_mul_f16_e32 v53, 0xb836, v84
	ds_write2_b32 v43, v20, v6 offset0:12 offset1:13
	v_pack_b32_f16 v6, v14, v51
	v_bfi_b32 v14, s6, v18, v52
	v_pk_add_f16 v6, v6, v14
	v_bfi_b32 v14, s6, v53, v16
	v_pk_add_f16 v14, v48, v14 neg_lo:[0,1] neg_hi:[0,1]
	v_pk_add_f16 v12, v12, v16
	v_fma_f16 v47, v75, s7, -v47
	v_bfi_b32 v12, s6, v14, v12
	v_add_f16_e32 v47, v47, v82
	v_pk_add_f16 v6, v12, v6
	v_alignbit_b32 v70, v76, v74, 16
	v_pack_b32_f16 v71, v72, v74
	v_alignbit_b32 v12, v47, v6, 16
	v_pack_b32_f16 v6, v50, v6
	ds_write2_b32 v43, v71, v70 offset0:1 offset1:2
	v_pack_b32_f16 v70, v79, v81
	v_pack_b32_f16 v71, v77, v78
	ds_write2_b32 v43, v6, v12 offset0:14 offset1:15
	v_pack_b32_f16 v6, v8, v10
	v_cmp_gt_u32_e64 s[0:1], 7, v0
	ds_write2_b32 v43, v71, v70 offset0:3 offset1:4
	ds_write_b32 v43, v6 offset:64
	s_and_saveexec_b64 s[4:5], s[0:1]
	s_cbranch_execz .LBB0_14
; %bb.13:
	v_pk_add_f16 v6, v5, v23
	v_pk_add_f16 v6, v6, v21
	v_pk_add_f16 v6, v6, v19
	v_pk_add_f16 v6, v6, v17
	v_pk_add_f16 v6, v6, v15
	v_pk_add_f16 v6, v6, v13
	v_pk_add_f16 v6, v6, v9
	v_pk_add_f16 v6, v6, v7
	v_pk_add_f16 v6, v6, v11
	v_pk_add_f16 v6, v6, v25
	v_pk_add_f16 v6, v6, v27
	v_pk_add_f16 v6, v6, v29
	v_pk_add_f16 v6, v6, v31
	v_pk_add_f16 v6, v6, v33
	v_pk_add_f16 v6, v6, v35
	v_pk_add_f16 v22, v6, v42
	v_pk_add_f16 v6, v23, v42 neg_lo:[0,1] neg_hi:[0,1]
	v_pk_add_f16 v23, v42, v23
	v_pk_add_f16 v8, v21, v35 neg_lo:[0,1] neg_hi:[0,1]
	v_pk_add_f16 v21, v35, v21
	;; [unrolled: 2-line block ×7, first 2 shown]
	v_mul_f16_e32 v24, 0xb836, v6
	v_lshrrev_b32_e32 v25, 16, v23
	v_pk_add_f16 v9, v7, v11 neg_lo:[0,1] neg_hi:[0,1]
	v_pk_add_f16 v7, v11, v7
	v_fma_f16 v11, v25, s18, v24
	v_mul_f16_e32 v26, 0x3b29, v8
	v_lshrrev_b32_e32 v27, 16, v21
	v_add_f16_sdwa v11, v5, v11 dst_sel:DWORD dst_unused:UNUSED_PAD src0_sel:WORD_1 src1_sel:DWORD
	v_fma_f16 v28, v27, s11, v26
	v_add_f16_e32 v11, v28, v11
	v_mul_f16_e32 v28, 0xbbf7, v10
	v_lshrrev_b32_e32 v29, 16, v20
	v_fma_f16 v30, v29, s13, v28
	v_add_f16_e32 v11, v30, v11
	v_mul_f16_e32 v30, 0x3a62, v12
	v_lshrrev_b32_e32 v31, 16, v19
	;; [unrolled: 4-line block ×6, first 2 shown]
	v_fma_f16 v45, v44, s15, v43
	v_add_f16_e32 v11, v45, v11
	v_mul_f16_sdwa v45, v6, s16 dst_sel:DWORD dst_unused:UNUSED_PAD src0_sel:WORD_1 src1_sel:DWORD
	v_fma_f16 v46, v23, s18, -v45
	v_mul_f16_sdwa v47, v8, s20 dst_sel:DWORD dst_unused:UNUSED_PAD src0_sel:WORD_1 src1_sel:DWORD
	v_add_f16_e32 v46, v5, v46
	v_fma_f16 v48, v21, s11, -v47
	v_add_f16_e32 v46, v48, v46
	v_mul_f16_sdwa v48, v10, s25 dst_sel:DWORD dst_unused:UNUSED_PAD src0_sel:WORD_1 src1_sel:DWORD
	v_fma_f16 v49, v20, s13, -v48
	v_add_f16_e32 v46, v49, v46
	v_mul_f16_sdwa v49, v12, s43 dst_sel:DWORD dst_unused:UNUSED_PAD src0_sel:WORD_1 src1_sel:DWORD
	v_fma_f16 v50, v19, s17, -v49
	v_add_f16_e32 v46, v50, v46
	v_mul_f16_sdwa v50, v14, s22 dst_sel:DWORD dst_unused:UNUSED_PAD src0_sel:WORD_1 src1_sel:DWORD
	v_fma_f16 v51, v18, s7, -v50
	v_add_f16_e32 v46, v51, v46
	v_mul_f16_sdwa v51, v15, s19 dst_sel:DWORD dst_unused:UNUSED_PAD src0_sel:WORD_1 src1_sel:DWORD
	v_fma_f16 v52, v17, s21, -v51
	v_add_f16_e32 v46, v52, v46
	v_mul_f16_sdwa v52, v13, s28 dst_sel:DWORD dst_unused:UNUSED_PAD src0_sel:WORD_1 src1_sel:DWORD
	v_fma_f16 v53, v16, s10, -v52
	v_add_f16_e32 v46, v53, v46
	v_mul_f16_sdwa v53, v9, s12 dst_sel:DWORD dst_unused:UNUSED_PAD src0_sel:WORD_1 src1_sel:DWORD
	v_fma_f16 v54, v7, s15, -v53
	v_add_f16_e32 v46, v54, v46
	v_mul_f16_e32 v54, 0xba62, v6
	v_fma_f16 v55, v25, s17, v54
	v_mul_f16_e32 v56, 0x3bb2, v8
	v_add_f16_sdwa v55, v5, v55 dst_sel:DWORD dst_unused:UNUSED_PAD src0_sel:WORD_1 src1_sel:DWORD
	v_fma_f16 v57, v27, s15, v56
	v_add_f16_e32 v55, v57, v55
	v_mul_f16_e32 v57, 0xb5c8, v10
	v_fma_f16 v58, v29, s7, v57
	v_add_f16_e32 v55, v58, v55
	v_mul_f16_e32 v58, 0xb836, v12
	v_fma_f16 v59, v31, s18, v58
	v_add_f16_e32 v55, v59, v55
	v_mul_f16_e32 v59, 0x3bf7, v14
	v_fma_f16 v60, v33, s13, v59
	v_add_f16_e32 v55, v60, v55
	v_mul_f16_e32 v60, 0xb964, v15
	v_fma_f16 v61, v35, s10, v60
	v_add_f16_e32 v55, v61, v55
	v_mul_f16_e32 v61, 0xb1e1, v13
	v_fma_f16 v62, v42, s21, v61
	v_add_f16_e32 v55, v62, v55
	v_mul_f16_e32 v62, 0x3b29, v9
	v_fma_f16 v63, v44, s11, v62
	v_add_f16_e32 v55, v63, v55
	v_mul_f16_sdwa v63, v6, s14 dst_sel:DWORD dst_unused:UNUSED_PAD src0_sel:WORD_1 src1_sel:DWORD
	v_fma_f16 v64, v23, s17, -v63
	v_mul_f16_sdwa v65, v8, s33 dst_sel:DWORD dst_unused:UNUSED_PAD src0_sel:WORD_1 src1_sel:DWORD
	v_add_f16_e32 v64, v5, v64
	v_fma_f16 v66, v21, s15, -v65
	v_add_f16_e32 v64, v66, v64
	v_mul_f16_sdwa v66, v10, s22 dst_sel:DWORD dst_unused:UNUSED_PAD src0_sel:WORD_1 src1_sel:DWORD
	v_fma_f16 v67, v20, s7, -v66
	v_add_f16_e32 v64, v67, v64
	v_mul_f16_sdwa v67, v12, s16 dst_sel:DWORD dst_unused:UNUSED_PAD src0_sel:WORD_1 src1_sel:DWORD
	v_fma_f16 v68, v19, s18, -v67
	v_add_f16_e32 v64, v68, v64
	v_mul_f16_sdwa v68, v14, s36 dst_sel:DWORD dst_unused:UNUSED_PAD src0_sel:WORD_1 src1_sel:DWORD
	v_fma_f16 v69, v18, s13, -v68
	v_add_f16_e32 v64, v69, v64
	v_mul_f16_sdwa v69, v15, s23 dst_sel:DWORD dst_unused:UNUSED_PAD src0_sel:WORD_1 src1_sel:DWORD
	v_fma_f16 v70, v17, s10, -v69
	v_add_f16_e32 v64, v70, v64
	v_mul_f16_sdwa v70, v13, s19 dst_sel:DWORD dst_unused:UNUSED_PAD src0_sel:WORD_1 src1_sel:DWORD
	v_fma_f16 v71, v16, s21, -v70
	v_add_f16_e32 v64, v71, v64
	v_mul_f16_sdwa v71, v9, s20 dst_sel:DWORD dst_unused:UNUSED_PAD src0_sel:WORD_1 src1_sel:DWORD
	v_fma_f16 v72, v7, s11, -v71
	v_add_f16_e32 v64, v72, v64
	v_mul_f16_e32 v72, 0xbbb2, v6
	v_fma_f16 v73, v25, s15, v72
	v_mul_f16_e32 v74, 0x3836, v8
	v_add_f16_sdwa v73, v5, v73 dst_sel:DWORD dst_unused:UNUSED_PAD src0_sel:WORD_1 src1_sel:DWORD
	v_fma_f16 v75, v27, s18, v74
	v_add_f16_e32 v73, v75, v73
	v_mul_f16_e32 v75, 0x3964, v10
	v_fma_f16 v76, v29, s10, v75
	v_add_f16_e32 v73, v76, v73
	v_mul_f16_e32 v76, 0xbb29, v12
	v_fma_f16 v77, v31, s11, v76
	v_add_f16_e32 v73, v77, v73
	v_mul_f16_e32 v77, 0xb1e1, v14
	v_fma_f16 v78, v33, s21, v77
	v_add_f16_e32 v73, v78, v73
	v_mul_f16_e32 v78, 0x3bf7, v15
	v_fma_f16 v79, v35, s13, v78
	v_add_f16_e32 v73, v79, v73
	v_mul_f16_e32 v79, 0xb5c8, v13
	v_fma_f16 v80, v42, s7, v79
	v_add_f16_e32 v73, v80, v73
	v_mul_f16_e32 v80, 0xba62, v9
	;; [unrolled: 48-line block ×3, first 2 shown]
	v_fma_f16 v99, v44, s10, v98
	v_add_f16_e32 v91, v99, v91
	v_mul_f16_sdwa v99, v6, s25 dst_sel:DWORD dst_unused:UNUSED_PAD src0_sel:WORD_1 src1_sel:DWORD
	v_fma_f16 v100, v23, s13, -v99
	v_mul_f16_sdwa v101, v8, s19 dst_sel:DWORD dst_unused:UNUSED_PAD src0_sel:WORD_1 src1_sel:DWORD
	v_add_f16_e32 v100, v5, v100
	v_fma_f16 v102, v21, s21, -v101
	v_add_f16_e32 v100, v102, v100
	v_mul_f16_sdwa v102, v10, s33 dst_sel:DWORD dst_unused:UNUSED_PAD src0_sel:WORD_1 src1_sel:DWORD
	v_fma_f16 v103, v20, s15, -v102
	v_add_f16_e32 v100, v103, v100
	v_mul_f16_sdwa v103, v12, s31 dst_sel:DWORD dst_unused:UNUSED_PAD src0_sel:WORD_1 src1_sel:DWORD
	;; [unrolled: 3-line block ×6, first 2 shown]
	v_fma_f16 v108, v7, s10, -v107
	v_add_f16_e32 v100, v108, v100
	v_mul_f16_e32 v108, 0xbb29, v6
	v_fma_f16 v109, v25, s11, v108
	v_mul_f16_e32 v110, 0xba62, v8
	v_add_f16_sdwa v109, v5, v109 dst_sel:DWORD dst_unused:UNUSED_PAD src0_sel:WORD_1 src1_sel:DWORD
	v_fma_f16 v111, v27, s17, v110
	v_add_f16_e32 v109, v111, v109
	v_mul_f16_e32 v111, 0x31e1, v10
	v_fma_f16 v112, v29, s21, v111
	v_fma_f16 v24, v25, s18, -v24
	v_add_f16_e32 v109, v112, v109
	v_mul_f16_e32 v112, 0x3bb2, v12
	v_add_f16_sdwa v24, v5, v24 dst_sel:DWORD dst_unused:UNUSED_PAD src0_sel:WORD_1 src1_sel:DWORD
	v_fma_f16 v26, v27, s11, -v26
	v_fma_f16 v113, v31, s15, v112
	v_add_f16_e32 v24, v26, v24
	v_fma_f16 v26, v29, s13, -v28
	v_add_f16_e32 v109, v113, v109
	v_mul_f16_e32 v113, 0x3964, v14
	v_add_f16_e32 v24, v26, v24
	v_fma_f16 v26, v31, s17, -v30
	v_fma_f16 v114, v33, s10, v113
	v_add_f16_e32 v24, v26, v24
	v_fma_f16 v26, v33, s7, -v32
	v_add_f16_e32 v109, v114, v109
	v_mul_f16_e32 v114, 0xb5c8, v15
	v_add_f16_e32 v24, v26, v24
	;; [unrolled: 7-line block ×3, first 2 shown]
	v_fma_f16 v26, v44, s15, -v43
	v_fma_f16 v116, v42, s13, v115
	v_add_f16_e32 v24, v26, v24
	v_fma_f16 v26, v23, s18, v45
	v_add_f16_e32 v109, v116, v109
	v_mul_f16_e32 v116, 0xbacd, v44
	v_add_f16_e32 v26, v5, v26
	v_fma_f16 v28, v21, s11, v47
	v_fma_f16 v117, v9, s16, v116
	v_add_f16_e32 v26, v28, v26
	v_fma_f16 v28, v20, s13, v48
	v_add_f16_e32 v109, v117, v109
	v_mul_f16_sdwa v117, v6, s24 dst_sel:DWORD dst_unused:UNUSED_PAD src0_sel:WORD_1 src1_sel:DWORD
	v_add_f16_e32 v26, v28, v26
	v_fma_f16 v28, v19, s17, v49
	v_fma_f16 v118, v23, s11, -v117
	v_mul_f16_sdwa v119, v8, s14 dst_sel:DWORD dst_unused:UNUSED_PAD src0_sel:WORD_1 src1_sel:DWORD
	v_add_f16_e32 v26, v28, v26
	v_fma_f16 v28, v18, s7, v50
	v_add_f16_e32 v118, v5, v118
	v_fma_f16 v120, v21, s17, -v119
	v_add_f16_e32 v26, v28, v26
	v_fma_f16 v28, v17, s21, v51
	v_add_f16_e32 v118, v120, v118
	v_mul_f16_sdwa v120, v10, s38 dst_sel:DWORD dst_unused:UNUSED_PAD src0_sel:WORD_1 src1_sel:DWORD
	v_add_f16_e32 v26, v28, v26
	v_fma_f16 v28, v16, s10, v52
	v_fma_f16 v121, v20, s21, -v120
	v_add_f16_e32 v26, v28, v26
	v_fma_f16 v28, v7, s15, v53
	v_add_f16_e32 v118, v121, v118
	v_mul_f16_sdwa v121, v12, s33 dst_sel:DWORD dst_unused:UNUSED_PAD src0_sel:WORD_1 src1_sel:DWORD
	v_add_f16_e32 v26, v28, v26
	v_fma_f16 v28, v25, s17, -v54
	v_fma_f16 v122, v19, s15, -v121
	v_add_f16_sdwa v28, v5, v28 dst_sel:DWORD dst_unused:UNUSED_PAD src0_sel:WORD_1 src1_sel:DWORD
	v_fma_f16 v30, v27, s15, -v56
	v_add_f16_e32 v118, v122, v118
	v_mul_f16_sdwa v122, v14, s28 dst_sel:DWORD dst_unused:UNUSED_PAD src0_sel:WORD_1 src1_sel:DWORD
	v_add_f16_e32 v28, v30, v28
	v_fma_f16 v30, v29, s7, -v57
	v_fma_f16 v123, v18, s10, -v122
	v_add_f16_e32 v28, v30, v28
	v_fma_f16 v30, v31, s18, -v58
	v_add_f16_e32 v118, v123, v118
	v_mul_f16_sdwa v123, v15, s22 dst_sel:DWORD dst_unused:UNUSED_PAD src0_sel:WORD_1 src1_sel:DWORD
	v_add_f16_e32 v28, v30, v28
	v_fma_f16 v30, v33, s13, -v59
	v_fma_f16 v124, v17, s7, -v123
	v_add_f16_e32 v28, v30, v28
	;; [unrolled: 7-line block ×3, first 2 shown]
	v_fma_f16 v30, v44, s11, -v62
	v_add_f16_e32 v118, v125, v118
	v_mul_f16_sdwa v125, v9, s16 dst_sel:DWORD dst_unused:UNUSED_PAD src0_sel:WORD_1 src1_sel:DWORD
	v_add_f16_e32 v28, v30, v28
	v_fma_f16 v30, v23, s17, v63
	v_fma_f16 v126, v7, s18, -v125
	v_add_f16_e32 v30, v5, v30
	v_fma_f16 v32, v21, s15, v65
	v_add_f16_e32 v118, v126, v118
	v_mul_f16_e32 v126, 0xb964, v6
	v_add_f16_e32 v30, v32, v30
	v_fma_f16 v32, v20, s7, v66
	v_fma_f16 v127, v25, s10, v126
	v_mul_f16_e32 v128, 0xbbf7, v8
	v_add_f16_e32 v30, v32, v30
	v_fma_f16 v32, v19, s18, v67
	v_add_f16_sdwa v127, v5, v127 dst_sel:DWORD dst_unused:UNUSED_PAD src0_sel:WORD_1 src1_sel:DWORD
	v_fma_f16 v129, v27, s13, v128
	v_add_f16_e32 v30, v32, v30
	v_fma_f16 v32, v18, s13, v68
	v_add_f16_e32 v127, v129, v127
	v_mul_f16_e32 v129, 0xba62, v10
	v_add_f16_e32 v30, v32, v30
	v_fma_f16 v32, v17, s10, v69
	v_fma_f16 v130, v29, s17, v129
	v_add_f16_e32 v30, v32, v30
	v_fma_f16 v32, v16, s21, v70
	v_add_f16_e32 v127, v130, v127
	v_mul_f16_e32 v130, 0xb1e1, v12
	v_add_f16_e32 v30, v32, v30
	v_fma_f16 v32, v7, s11, v71
	v_fma_f16 v131, v31, s21, v130
	v_add_f16_e32 v30, v32, v30
	v_fma_f16 v32, v25, s15, -v72
	v_add_f16_e32 v127, v131, v127
	v_mul_f16_e32 v131, 0x3836, v14
	v_add_f16_sdwa v32, v5, v32 dst_sel:DWORD dst_unused:UNUSED_PAD src0_sel:WORD_1 src1_sel:DWORD
	v_fma_f16 v34, v27, s18, -v74
	v_fma_f16 v132, v33, s18, v131
	v_add_f16_e32 v32, v34, v32
	v_fma_f16 v34, v29, s10, -v75
	v_add_f16_e32 v127, v132, v127
	v_mul_f16_e32 v132, 0x3bb2, v15
	v_add_f16_e32 v32, v34, v32
	v_fma_f16 v34, v31, s11, -v76
	v_fma_f16 v133, v35, s15, v132
	v_add_f16_e32 v32, v34, v32
	v_fma_f16 v34, v33, s21, -v77
	v_add_f16_e32 v127, v133, v127
	v_mul_f16_e32 v133, 0x3b29, v13
	v_add_f16_e32 v32, v34, v32
	;; [unrolled: 7-line block ×3, first 2 shown]
	v_fma_f16 v34, v44, s17, -v80
	v_fma_f16 v135, v44, s7, v134
	v_add_f16_e32 v32, v34, v32
	v_fma_f16 v34, v23, s15, v81
	v_add_f16_e32 v127, v135, v127
	v_pk_mul_f16 v135, v23, s26
	v_add_f16_e32 v34, v5, v34
	v_fma_f16 v36, v21, s18, v83
	v_pk_fma_f16 v136, v6, s27, v135 op_sel:[0,0,1] op_sel_hi:[1,1,0]
	v_pk_fma_f16 v135, v6, s27, v135 op_sel:[0,0,1] op_sel_hi:[1,1,0] neg_lo:[1,0,0] neg_hi:[1,0,0]
	v_pk_mul_f16 v138, v21, s29
	v_add_f16_e32 v34, v36, v34
	v_fma_f16 v36, v20, s10, v84
	v_bfi_b32 v137, s6, v136, v135
	v_pk_fma_f16 v139, v8, s30, v138 op_sel:[0,0,1] op_sel_hi:[1,1,0]
	v_pk_fma_f16 v138, v8, s30, v138 op_sel:[0,0,1] op_sel_hi:[1,1,0] neg_lo:[1,0,0] neg_hi:[1,0,0]
	v_add_f16_e32 v34, v36, v34
	v_fma_f16 v36, v19, s11, v85
	v_pk_add_f16 v137, v5, v137 op_sel:[1,0] op_sel_hi:[0,1]
	v_bfi_b32 v140, s6, v139, v138
	v_add_f16_e32 v34, v36, v34
	v_fma_f16 v36, v18, s21, v86
	v_pk_add_f16 v137, v140, v137
	v_pk_mul_f16 v140, v20, s34
	v_add_f16_e32 v34, v36, v34
	v_fma_f16 v43, v17, s13, v87
	v_pk_fma_f16 v141, v10, s35, v140 op_sel:[0,0,1] op_sel_hi:[1,1,0]
	v_pk_fma_f16 v140, v10, s35, v140 op_sel:[0,0,1] op_sel_hi:[1,1,0] neg_lo:[1,0,0] neg_hi:[1,0,0]
	v_add_f16_e32 v34, v43, v34
	v_fma_f16 v45, v16, s7, v88
	v_bfi_b32 v142, s6, v141, v140
	v_add_f16_e32 v34, v45, v34
	v_fma_f16 v47, v7, s17, v89
	v_pk_add_f16 v137, v142, v137
	v_pk_mul_f16 v142, v19, s39
	v_add_f16_e32 v34, v47, v34
	v_fma_f16 v47, v25, s13, -v90
	v_pk_fma_f16 v143, v12, s40, v142 op_sel:[0,0,1] op_sel_hi:[1,1,0]
	v_pk_fma_f16 v142, v12, s40, v142 op_sel:[0,0,1] op_sel_hi:[1,1,0] neg_lo:[1,0,0] neg_hi:[1,0,0]
	v_add_f16_sdwa v47, v5, v47 dst_sel:DWORD dst_unused:UNUSED_PAD src0_sel:WORD_1 src1_sel:DWORD
	v_fma_f16 v48, v27, s21, -v92
	v_bfi_b32 v144, s6, v143, v142
	v_add_f16_e32 v47, v48, v47
	v_fma_f16 v48, v29, s15, -v93
	v_pk_add_f16 v137, v144, v137
	v_pk_mul_f16 v144, v18, s41
	v_add_f16_e32 v47, v48, v47
	v_fma_f16 v48, v31, s7, -v94
	v_pk_fma_f16 v145, v14, s42, v144 op_sel:[0,0,1] op_sel_hi:[1,1,0]
	v_pk_fma_f16 v144, v14, s42, v144 op_sel:[0,0,1] op_sel_hi:[1,1,0] neg_lo:[1,0,0] neg_hi:[1,0,0]
	v_add_f16_e32 v47, v48, v47
	v_fma_f16 v48, v33, s11, -v95
	v_bfi_b32 v146, s6, v145, v144
	v_add_f16_e32 v47, v48, v47
	v_fma_f16 v48, v35, s18, -v96
	v_pk_add_f16 v137, v146, v137
	v_pk_mul_f16 v146, v17, s44
	v_add_f16_e32 v47, v48, v47
	v_fma_f16 v48, v42, s17, -v97
	v_pk_fma_f16 v147, v15, s45, v146 op_sel:[0,0,1] op_sel_hi:[1,1,0]
	v_pk_fma_f16 v146, v15, s45, v146 op_sel:[0,0,1] op_sel_hi:[1,1,0] neg_lo:[1,0,0] neg_hi:[1,0,0]
	v_add_f16_e32 v47, v48, v47
	v_fma_f16 v48, v44, s10, -v98
	v_bfi_b32 v148, s6, v147, v146
	v_add_f16_e32 v47, v48, v47
	v_fma_f16 v48, v23, s13, v99
	v_pk_add_f16 v137, v148, v137
	v_pk_mul_f16 v148, v16, s47
	v_add_f16_e32 v48, v5, v48
	v_fma_f16 v49, v21, s21, v101
	v_pk_fma_f16 v149, v13, s48, v148 op_sel:[0,0,1] op_sel_hi:[1,1,0]
	v_pk_fma_f16 v148, v13, s48, v148 op_sel:[0,0,1] op_sel_hi:[1,1,0] neg_lo:[1,0,0] neg_hi:[1,0,0]
	v_add_f16_e32 v48, v49, v48
	v_fma_f16 v49, v20, s15, v102
	v_bfi_b32 v150, s6, v149, v148
	v_add_f16_e32 v48, v49, v48
	v_fma_f16 v49, v19, s7, v103
	v_pk_add_f16 v137, v150, v137
	v_pk_mul_f16 v150, v7, s49
	v_add_f16_e32 v48, v49, v48
	v_fma_f16 v49, v18, s11, v104
	v_pk_fma_f16 v151, v9, s46, v150 op_sel:[0,0,1] op_sel_hi:[1,1,0]
	v_pk_fma_f16 v152, v9, s46, v150 op_sel:[0,0,1] op_sel_hi:[1,1,0] neg_lo:[1,0,0] neg_hi:[1,0,0]
	v_add_f16_e32 v48, v49, v48
	v_fma_f16 v49, v17, s18, v105
	v_bfi_b32 v151, s6, v151, v152
	v_add_f16_e32 v48, v49, v48
	v_fma_f16 v49, v16, s17, v106
	v_pk_add_f16 v137, v151, v137
	v_mul_f16_sdwa v151, v6, s22 dst_sel:DWORD dst_unused:UNUSED_PAD src0_sel:WORD_1 src1_sel:DWORD
	v_add_f16_e32 v48, v49, v48
	v_fma_f16 v49, v7, s10, v107
	v_fma_f16 v153, v23, s7, -v151
	v_mul_f16_sdwa v154, v8, s23 dst_sel:DWORD dst_unused:UNUSED_PAD src0_sel:WORD_1 src1_sel:DWORD
	v_add_f16_e32 v48, v49, v48
	v_fma_f16 v49, v25, s11, -v108
	v_fma_f16 v25, v25, s10, -v126
	v_add_f16_e32 v153, v5, v153
	v_fma_f16 v155, v21, s10, -v154
	v_fma_f16 v50, v27, s17, -v110
	v_add_f16_sdwa v25, v5, v25 dst_sel:DWORD dst_unused:UNUSED_PAD src0_sel:WORD_1 src1_sel:DWORD
	v_fma_f16 v27, v27, s13, -v128
	v_add_f16_e32 v153, v155, v153
	v_mul_f16_sdwa v155, v10, s24 dst_sel:DWORD dst_unused:UNUSED_PAD src0_sel:WORD_1 src1_sel:DWORD
	v_add_f16_e32 v25, v27, v25
	v_fma_f16 v27, v29, s17, -v129
	v_fma_f16 v156, v20, s11, -v155
	v_add_f16_e32 v25, v27, v25
	v_fma_f16 v27, v31, s21, -v130
	v_add_f16_e32 v153, v156, v153
	v_mul_f16_sdwa v156, v12, s25 dst_sel:DWORD dst_unused:UNUSED_PAD src0_sel:WORD_1 src1_sel:DWORD
	v_mul_i32_i24_e32 v36, 0x44, v4
	v_add_f16_sdwa v49, v5, v49 dst_sel:DWORD dst_unused:UNUSED_PAD src0_sel:WORD_1 src1_sel:DWORD
	v_add_f16_e32 v25, v27, v25
	v_fma_f16 v27, v33, s18, -v131
	v_fma_f16 v157, v19, s13, -v156
	v_add3_u32 v36, 0, v36, v41
	v_add_f16_e32 v49, v50, v49
	v_fma_f16 v50, v29, s21, -v111
	v_add_f16_e32 v25, v27, v25
	v_fma_f16 v27, v35, s15, -v132
	v_pack_b32_f16 v11, v46, v11
	v_add_f16_e32 v153, v157, v153
	v_mul_f16_sdwa v157, v14, s12 dst_sel:DWORD dst_unused:UNUSED_PAD src0_sel:WORD_1 src1_sel:DWORD
	v_add_f16_e32 v49, v50, v49
	v_fma_f16 v50, v31, s15, -v112
	v_fma_f16 v51, v23, s11, v117
	v_add_f16_e32 v25, v27, v25
	v_fma_f16 v27, v42, s11, -v133
	v_fma_f16 v31, v23, s7, v151
	ds_write2_b32 v36, v22, v11 offset1:7
	v_pk_mul_f16 v11, v23, s21 op_sel_hi:[1,0]
	v_fma_f16 v158, v18, s15, -v157
	v_add_f16_e32 v49, v50, v49
	v_fma_f16 v50, v33, s10, -v113
	v_add_f16_e32 v51, v5, v51
	v_fma_f16 v52, v21, s17, v119
	v_add_f16_e32 v25, v27, v25
	v_fma_f16 v27, v44, s7, -v134
	v_add_f16_e32 v31, v5, v31
	v_fma_f16 v33, v21, s10, v154
	v_pk_fma_f16 v22, v6, s19, v11 op_sel:[0,0,1] op_sel_hi:[1,0,0] neg_lo:[1,0,0] neg_hi:[1,0,0]
	v_pk_mul_f16 v21, v21, s7 op_sel_hi:[1,0]
	v_pk_fma_f16 v6, v6, s19, v11 op_sel:[0,0,1] op_sel_hi:[1,0,0]
	v_add_f16_e32 v153, v158, v153
	v_mul_f16_sdwa v158, v15, s14 dst_sel:DWORD dst_unused:UNUSED_PAD src0_sel:WORD_1 src1_sel:DWORD
	v_add_f16_e32 v51, v52, v51
	v_fma_f16 v52, v20, s21, v120
	v_add_f16_e32 v25, v27, v25
	v_pk_add_f16 v27, v5, v136 op_sel:[1,0] op_sel_hi:[0,1]
	v_add_f16_sdwa v29, v5, v135 dst_sel:DWORD dst_unused:UNUSED_PAD src0_sel:WORD_1 src1_sel:DWORD
	v_add_f16_e32 v31, v33, v31
	v_fma_f16 v33, v20, s11, v155
	v_pk_add_f16 v22, v5, v22 op_sel:[1,0] op_sel_hi:[0,1]
	v_pk_fma_f16 v23, v8, s31, v21 op_sel:[0,0,1] op_sel_hi:[1,0,0] neg_lo:[1,0,0] neg_hi:[1,0,0]
	v_pk_mul_f16 v20, v20, s18 op_sel_hi:[1,0]
	v_pk_add_f16 v5, v5, v6 op_sel:[1,0] op_sel_hi:[0,1]
	v_pk_fma_f16 v6, v8, s31, v21 op_sel:[0,0,1] op_sel_hi:[1,0,0]
	v_fma_f16 v159, v17, s17, -v158
	v_add_f16_e32 v51, v52, v51
	v_fma_f16 v52, v19, s15, v121
	v_add_f16_e32 v31, v33, v31
	v_fma_f16 v33, v19, s13, v156
	v_pk_add_f16 v22, v23, v22
	v_pk_fma_f16 v23, v10, s16, v20 op_sel:[0,0,1] op_sel_hi:[1,0,0] neg_lo:[1,0,0] neg_hi:[1,0,0]
	v_pk_mul_f16 v19, v19, s10 op_sel_hi:[1,0]
	v_pk_add_f16 v5, v6, v5
	v_pk_fma_f16 v6, v10, s16, v20 op_sel:[0,0,1] op_sel_hi:[1,0,0]
	v_add_f16_e32 v153, v159, v153
	v_mul_f16_sdwa v159, v13, s16 dst_sel:DWORD dst_unused:UNUSED_PAD src0_sel:WORD_1 src1_sel:DWORD
	v_add_f16_e32 v51, v52, v51
	v_fma_f16 v52, v18, s10, v122
	v_add_f16_e32 v31, v33, v31
	v_fma_f16 v33, v18, s15, v157
	v_pk_add_f16 v22, v23, v22
	v_pk_fma_f16 v23, v12, s28, v19 op_sel:[0,0,1] op_sel_hi:[1,0,0] neg_lo:[1,0,0] neg_hi:[1,0,0]
	v_pk_mul_f16 v18, v18, s17 op_sel_hi:[1,0]
	v_pk_add_f16 v5, v6, v5
	v_pk_fma_f16 v6, v12, s28, v19 op_sel:[0,0,1] op_sel_hi:[1,0,0]
	v_fma_f16 v160, v16, s18, -v159
	v_add_f16_e32 v51, v52, v51
	v_fma_f16 v52, v17, s7, v123
	v_add_f16_e32 v31, v33, v31
	v_fma_f16 v33, v17, s17, v158
	v_pk_add_f16 v22, v23, v22
	v_pk_fma_f16 v23, v14, s14, v18 op_sel:[0,0,1] op_sel_hi:[1,0,0] neg_lo:[1,0,0] neg_hi:[1,0,0]
	v_pk_mul_f16 v17, v17, s11 op_sel_hi:[1,0]
	v_pk_add_f16 v5, v6, v5
	v_pk_fma_f16 v6, v14, s14, v18 op_sel:[0,0,1] op_sel_hi:[1,0,0]
	v_add_f16_e32 v153, v160, v153
	v_mul_f16_sdwa v160, v9, s19 dst_sel:DWORD dst_unused:UNUSED_PAD src0_sel:WORD_1 src1_sel:DWORD
	v_add_f16_e32 v51, v52, v51
	v_fma_f16 v52, v16, s13, v124
	v_add_f16_e32 v31, v33, v31
	v_fma_f16 v33, v16, s18, v159
	v_pk_add_f16 v22, v23, v22
	v_pk_fma_f16 v23, v15, s20, v17 op_sel:[0,0,1] op_sel_hi:[1,0,0] neg_lo:[1,0,0] neg_hi:[1,0,0]
	v_pk_mul_f16 v16, v16, s15 op_sel_hi:[1,0]
	v_pk_add_f16 v5, v6, v5
	v_pk_fma_f16 v6, v15, s20, v17 op_sel:[0,0,1] op_sel_hi:[1,0,0]
	v_fma_f16 v161, v7, s21, -v160
	v_add_f16_e32 v51, v52, v51
	v_fma_f16 v52, v7, s18, v125
	v_add_f16_e32 v31, v33, v31
	v_fma_f16 v33, v7, s21, v160
	v_pk_add_f16 v22, v23, v22
	v_pk_fma_f16 v23, v13, s12, v16 op_sel:[0,0,1] op_sel_hi:[1,0,0] neg_lo:[1,0,0] neg_hi:[1,0,0]
	v_pk_mul_f16 v7, v7, s13 op_sel_hi:[1,0]
	v_pk_add_f16 v5, v6, v5
	v_pk_fma_f16 v6, v13, s12, v16 op_sel:[0,0,1] op_sel_hi:[1,0,0]
	v_pk_add_f16 v27, v139, v27
	v_pk_add_f16 v22, v23, v22
	v_pk_fma_f16 v23, v9, s36, v7 op_sel:[0,0,1] op_sel_hi:[1,0,0] neg_lo:[1,0,0] neg_hi:[1,0,0]
	v_pk_add_f16 v5, v6, v5
	v_pk_fma_f16 v6, v9, s36, v7 op_sel:[0,0,1] op_sel_hi:[1,0,0]
	v_pk_add_f16 v27, v141, v27
	v_pk_add_f16 v22, v23, v22
	;; [unrolled: 1-line block ×4, first 2 shown]
	v_alignbit_b32 v6, v22, v5, 16
	v_alignbit_b32 v5, v5, v22, 16
	v_pk_add_f16 v27, v145, v27
	ds_write2_b32 v36, v5, v6 offset0:8 offset1:9
	v_pack_b32_f16 v5, v30, v28
	v_pack_b32_f16 v6, v26, v24
	v_mul_f16_e32 v43, 0xb836, v9
	v_pk_add_f16 v27, v147, v27
	v_add_f16_e32 v29, v138, v29
	ds_write2_b32 v36, v6, v5 offset0:10 offset1:11
	v_pack_b32_f16 v5, v48, v47
	v_pack_b32_f16 v6, v34, v32
	v_add_f16_e32 v49, v50, v49
	v_fma_f16 v50, v35, s7, -v114
	v_add_f16_e32 v29, v140, v29
	ds_write2_b32 v36, v6, v5 offset0:12 offset1:13
	v_bfi_b32 v5, s6, v43, v27
	v_pk_mul_f16 v45, v9, s46
	v_add_f16_e32 v49, v50, v49
	v_fma_f16 v50, v42, s13, -v115
	v_add_f16_e32 v29, v142, v29
	v_pk_add_f16 v5, v116, v5 neg_lo:[0,1] neg_hi:[0,1]
	v_pk_add_f16 v6, v149, v27
	v_add_f16_e32 v29, v144, v29
	v_bfi_b32 v5, s6, v5, v6
	v_pack_b32_f16 v6, v50, v150
	v_bfi_b32 v7, s6, v49, v45
	v_add_f16_e32 v153, v161, v153
	v_add_f16_e32 v29, v146, v29
	v_pk_add_f16 v6, v6, v7
	v_add_f16_e32 v51, v52, v51
	v_add_f16_e32 v29, v148, v29
	;; [unrolled: 1-line block ×3, first 2 shown]
	v_alignbit_b32 v33, v127, v137, 16
	v_pack_b32_f16 v35, v153, v137
	v_pk_add_f16 v5, v5, v6
	v_add_f16_e32 v29, v152, v29
	ds_write2_b32 v36, v35, v33 offset0:1 offset1:2
	v_pack_b32_f16 v33, v100, v91
	v_pack_b32_f16 v35, v118, v109
	v_alignbit_b32 v6, v25, v5, 16
	v_pack_b32_f16 v5, v51, v5
	ds_write2_b32 v36, v35, v33 offset0:3 offset1:4
	v_pack_b32_f16 v33, v64, v55
	v_pack_b32_f16 v35, v82, v73
	ds_write2_b32 v36, v5, v6 offset0:14 offset1:15
	v_pack_b32_f16 v5, v31, v29
	ds_write2_b32 v36, v35, v33 offset0:5 offset1:6
	ds_write_b32 v36, v5 offset:64
.LBB0_14:
	s_or_b64 exec, exec, s[4:5]
	v_lshlrev_b32_e32 v5, 2, v4
	v_add3_u32 v7, 0, v5, v41
	v_lshlrev_b32_e32 v5, 1, v0
	v_mov_b32_e32 v6, 0
	v_lshlrev_b64 v[12:13], 2, v[5:6]
	v_mov_b32_e32 v50, s9
	v_add_co_u32_e64 v12, s[0:1], s8, v12
	v_addc_co_u32_e64 v13, s[0:1], v50, v13, s[0:1]
	s_waitcnt lgkmcnt(0)
	; wave barrier
	s_waitcnt lgkmcnt(0)
	ds_read_b32 v36, v37
	ds_read2_b32 v[8:9], v1 offset0:136 offset1:153
	ds_read2_b32 v[10:11], v40 offset0:16 offset1:33
	global_load_dwordx2 v[12:13], v[12:13], off
	v_add_u16_e32 v14, 34, v0
	s_movk_i32 s0, 0xf1
	v_mul_lo_u16_sdwa v15, v14, s0 dst_sel:DWORD dst_unused:UNUSED_PAD src0_sel:BYTE_0 src1_sel:DWORD
	v_lshrrev_b16_e32 v15, 12, v15
	v_mul_lo_u16_e32 v15, 17, v15
	v_sub_u16_e32 v56, v14, v15
	v_mov_b32_e32 v30, 3
	v_add_u16_e32 v16, 51, v0
	v_lshlrev_b32_sdwa v14, v30, v56 dst_sel:DWORD dst_unused:UNUSED_PAD src0_sel:DWORD src1_sel:BYTE_0
	v_mul_lo_u16_sdwa v17, v16, s0 dst_sel:DWORD dst_unused:UNUSED_PAD src0_sel:BYTE_0 src1_sel:DWORD
	global_load_dwordx2 v[14:15], v14, s[8:9]
	v_lshrrev_b16_e32 v17, 12, v17
	v_mul_lo_u16_e32 v17, 17, v17
	v_sub_u16_e32 v58, v16, v17
	v_add_u16_e32 v20, 0x44, v0
	v_lshlrev_b32_sdwa v16, v30, v58 dst_sel:DWORD dst_unused:UNUSED_PAD src0_sel:DWORD src1_sel:BYTE_0
	global_load_dwordx2 v[16:17], v16, s[8:9]
	v_mul_lo_u16_sdwa v21, v20, s0 dst_sel:DWORD dst_unused:UNUSED_PAD src0_sel:BYTE_0 src1_sel:DWORD
	v_lshrrev_b16_e32 v21, 12, v21
	v_mul_lo_u16_e32 v21, 17, v21
	v_sub_u16_e32 v59, v20, v21
	v_add_u16_e32 v22, 0x55, v0
	v_lshlrev_b32_sdwa v20, v30, v59 dst_sel:DWORD dst_unused:UNUSED_PAD src0_sel:DWORD src1_sel:BYTE_0
	global_load_dwordx2 v[20:21], v20, s[8:9]
	v_mul_lo_u16_sdwa v23, v22, s0 dst_sel:DWORD dst_unused:UNUSED_PAD src0_sel:BYTE_0 src1_sel:DWORD
	;; [unrolled: 7-line block ×3, first 2 shown]
	v_lshrrev_b16_e32 v27, 12, v27
	v_mul_lo_u16_e32 v27, 17, v27
	v_sub_u16_e32 v62, v26, v27
	v_add_u16_e32 v31, 0x77, v0
	v_lshlrev_b32_sdwa v26, v30, v62 dst_sel:DWORD dst_unused:UNUSED_PAD src0_sel:DWORD src1_sel:BYTE_0
	v_mul_lo_u16_sdwa v32, v31, s0 dst_sel:DWORD dst_unused:UNUSED_PAD src0_sel:BYTE_0 src1_sel:DWORD
	global_load_dwordx2 v[26:27], v26, s[8:9]
	v_lshrrev_b16_e32 v32, 12, v32
	v_mul_lo_u16_e32 v32, 17, v32
	v_sub_u16_e32 v63, v31, v32
	v_lshlrev_b32_sdwa v30, v30, v63 dst_sel:DWORD dst_unused:UNUSED_PAD src0_sel:DWORD src1_sel:BYTE_0
	global_load_dwordx2 v[30:31], v30, s[8:9]
	s_waitcnt lgkmcnt(1)
	v_lshrrev_b32_e32 v52, 16, v8
	s_waitcnt lgkmcnt(0)
	v_lshrrev_b32_e32 v53, 16, v10
	ds_read2_b32 v[24:25], v1 offset0:170 offset1:187
	v_lshrrev_b32_e32 v55, 16, v9
	ds_read2_b32 v[28:29], v40 offset0:50 offset1:67
	v_lshrrev_b32_e32 v57, 16, v11
	ds_read_b32 v5, v7
	s_waitcnt lgkmcnt(2)
	v_lshrrev_b32_e32 v64, 16, v24
	ds_read2_b32 v[18:19], v1 offset0:34 offset1:51
	s_waitcnt lgkmcnt(2)
	v_lshrrev_b32_e32 v65, 16, v28
	ds_read2_b32 v[32:33], v1 offset0:68 offset1:85
	ds_read2_b32 v[34:35], v1 offset0:204 offset1:221
	;; [unrolled: 1-line block ×3, first 2 shown]
	v_lshrrev_b32_e32 v67, 16, v25
	v_lshrrev_b32_e32 v68, 16, v29
	ds_read2_b32 v[44:45], v1 offset0:102 offset1:119
	ds_read2_b32 v[46:47], v1 offset0:238 offset1:255
	;; [unrolled: 1-line block ×3, first 2 shown]
	s_waitcnt lgkmcnt(4)
	v_lshrrev_b32_e32 v70, 16, v34
	s_waitcnt lgkmcnt(3)
	v_lshrrev_b32_e32 v71, 16, v42
	v_lshrrev_b32_e32 v73, 16, v35
	;; [unrolled: 1-line block ×3, first 2 shown]
	s_waitcnt lgkmcnt(1)
	v_lshrrev_b32_e32 v76, 16, v46
	s_waitcnt lgkmcnt(0)
	v_lshrrev_b32_e32 v77, 16, v48
	v_lshrrev_b32_e32 v79, 16, v47
	;; [unrolled: 1-line block ×4, first 2 shown]
	s_movk_i32 s0, 0x3aee
	s_mov_b32 s1, 0xbaee
	v_lshrrev_b32_e32 v54, 16, v5
	v_lshrrev_b32_e32 v60, 16, v18
	s_waitcnt lgkmcnt(0)
	; wave barrier
	v_lshrrev_b32_e32 v66, 16, v19
	v_lshrrev_b32_e32 v69, 16, v32
	;; [unrolled: 1-line block ×5, first 2 shown]
	s_waitcnt vmcnt(6)
	v_mul_f16_sdwa v81, v52, v12 dst_sel:DWORD dst_unused:UNUSED_PAD src0_sel:DWORD src1_sel:WORD_1
	v_fma_f16 v81, v8, v12, -v81
	v_mul_f16_sdwa v8, v8, v12 dst_sel:DWORD dst_unused:UNUSED_PAD src0_sel:DWORD src1_sel:WORD_1
	v_fma_f16 v8, v52, v12, v8
	v_mul_f16_sdwa v52, v53, v13 dst_sel:DWORD dst_unused:UNUSED_PAD src0_sel:DWORD src1_sel:WORD_1
	v_fma_f16 v52, v10, v13, -v52
	v_mul_f16_sdwa v10, v10, v13 dst_sel:DWORD dst_unused:UNUSED_PAD src0_sel:DWORD src1_sel:WORD_1
	v_fma_f16 v10, v53, v13, v10
	;; [unrolled: 4-line block ×4, first 2 shown]
	s_waitcnt vmcnt(5)
	v_mul_f16_sdwa v13, v64, v14 dst_sel:DWORD dst_unused:UNUSED_PAD src0_sel:DWORD src1_sel:WORD_1
	v_fma_f16 v13, v24, v14, -v13
	v_mul_f16_sdwa v24, v24, v14 dst_sel:DWORD dst_unused:UNUSED_PAD src0_sel:DWORD src1_sel:WORD_1
	v_fma_f16 v14, v64, v14, v24
	v_mul_f16_sdwa v24, v65, v15 dst_sel:DWORD dst_unused:UNUSED_PAD src0_sel:DWORD src1_sel:WORD_1
	v_fma_f16 v24, v28, v15, -v24
	v_mul_f16_sdwa v28, v28, v15 dst_sel:DWORD dst_unused:UNUSED_PAD src0_sel:DWORD src1_sel:WORD_1
	v_fma_f16 v15, v65, v15, v28
	s_waitcnt vmcnt(4)
	v_mul_f16_sdwa v28, v67, v16 dst_sel:DWORD dst_unused:UNUSED_PAD src0_sel:DWORD src1_sel:WORD_1
	v_fma_f16 v28, v25, v16, -v28
	v_mul_f16_sdwa v25, v25, v16 dst_sel:DWORD dst_unused:UNUSED_PAD src0_sel:DWORD src1_sel:WORD_1
	v_fma_f16 v16, v67, v16, v25
	v_mul_f16_sdwa v25, v68, v17 dst_sel:DWORD dst_unused:UNUSED_PAD src0_sel:DWORD src1_sel:WORD_1
	v_fma_f16 v25, v29, v17, -v25
	v_mul_f16_sdwa v29, v29, v17 dst_sel:DWORD dst_unused:UNUSED_PAD src0_sel:DWORD src1_sel:WORD_1
	v_fma_f16 v17, v68, v17, v29
	;; [unrolled: 9-line block ×5, first 2 shown]
	s_waitcnt vmcnt(0)
	v_mul_f16_sdwa v48, v79, v30 dst_sel:DWORD dst_unused:UNUSED_PAD src0_sel:DWORD src1_sel:WORD_1
	v_fma_f16 v48, v47, v30, -v48
	v_mul_f16_sdwa v47, v47, v30 dst_sel:DWORD dst_unused:UNUSED_PAD src0_sel:DWORD src1_sel:WORD_1
	v_fma_f16 v30, v79, v30, v47
	v_mul_f16_sdwa v47, v80, v31 dst_sel:DWORD dst_unused:UNUSED_PAD src0_sel:DWORD src1_sel:WORD_1
	v_fma_f16 v47, v49, v31, -v47
	v_mul_f16_sdwa v49, v49, v31 dst_sel:DWORD dst_unused:UNUSED_PAD src0_sel:DWORD src1_sel:WORD_1
	v_add_f16_e32 v55, v81, v52
	v_fma_f16 v31, v80, v31, v49
	v_add_f16_e32 v49, v36, v81
	v_fma_f16 v36, v55, -0.5, v36
	v_sub_f16_e32 v55, v8, v10
	v_fma_f16 v57, v55, s0, v36
	v_fma_f16 v36, v55, s1, v36
	v_add_f16_e32 v55, v51, v8
	v_add_f16_e32 v8, v8, v10
	;; [unrolled: 1-line block ×4, first 2 shown]
	v_fma_f16 v8, v8, -0.5, v51
	v_sub_f16_e32 v10, v81, v52
	v_add_f16_e32 v52, v53, v12
	v_fma_f16 v51, v10, s1, v8
	v_fma_f16 v8, v10, s0, v8
	v_add_f16_e32 v10, v5, v53
	v_fma_f16 v5, v52, -0.5, v5
	v_sub_f16_e32 v52, v9, v11
	v_fma_f16 v64, v52, s0, v5
	v_fma_f16 v5, v52, s1, v5
	v_add_f16_e32 v52, v54, v9
	v_add_f16_e32 v9, v9, v11
	;; [unrolled: 1-line block ×4, first 2 shown]
	v_fma_f16 v9, v9, -0.5, v54
	v_sub_f16_e32 v11, v53, v12
	v_add_f16_e32 v53, v13, v24
	v_fma_f16 v12, v11, s1, v9
	v_fma_f16 v9, v11, s0, v9
	v_add_f16_e32 v11, v18, v13
	v_fma_f16 v18, v53, -0.5, v18
	v_sub_f16_e32 v53, v14, v15
	v_pack_b32_f16 v8, v36, v8
	v_pack_b32_f16 v10, v10, v52
	v_fma_f16 v54, v53, s0, v18
	v_fma_f16 v18, v53, s1, v18
	v_add_f16_e32 v53, v60, v14
	v_add_f16_e32 v14, v14, v15
	ds_write2_b32 v1, v8, v10 offset0:34 offset1:51
	v_pack_b32_f16 v8, v64, v12
	v_pack_b32_f16 v5, v5, v9
	v_add_f16_e32 v11, v11, v24
	v_fma_f16 v14, v14, -0.5, v60
	v_sub_f16_e32 v13, v13, v24
	v_add_f16_e32 v24, v28, v25
	ds_write2_b32 v1, v8, v5 offset0:68 offset1:85
	v_mov_b32_e32 v5, 2
	v_add_f16_e32 v53, v53, v15
	v_fma_f16 v15, v13, s1, v14
	v_fma_f16 v13, v13, s0, v14
	v_add_f16_e32 v14, v19, v28
	v_fma_f16 v19, v24, -0.5, v19
	v_sub_f16_e32 v24, v16, v17
	v_lshlrev_b32_sdwa v8, v5, v56 dst_sel:DWORD dst_unused:UNUSED_PAD src0_sel:DWORD src1_sel:BYTE_0
	v_fma_f16 v60, v24, s0, v19
	v_fma_f16 v19, v24, s1, v19
	v_add_f16_e32 v24, v66, v16
	v_add_f16_e32 v16, v16, v17
	v_add3_u32 v8, 0, v8, v41
	v_pack_b32_f16 v9, v11, v53
	v_pack_b32_f16 v10, v54, v15
	v_add_f16_e32 v24, v24, v17
	v_fma_f16 v16, v16, -0.5, v66
	v_sub_f16_e32 v17, v28, v25
	v_add_f16_e32 v28, v29, v34
	ds_write2_b32 v8, v9, v10 offset0:102 offset1:119
	v_pack_b32_f16 v9, v18, v13
	v_add_f16_e32 v14, v14, v25
	v_fma_f16 v25, v17, s1, v16
	v_fma_f16 v16, v17, s0, v16
	v_add_f16_e32 v17, v32, v29
	v_fma_f16 v28, v28, -0.5, v32
	v_sub_f16_e32 v32, v20, v21
	ds_write_b32 v8, v9 offset:544
	v_lshlrev_b32_sdwa v8, v5, v58 dst_sel:DWORD dst_unused:UNUSED_PAD src0_sel:DWORD src1_sel:BYTE_0
	v_fma_f16 v65, v32, s0, v28
	v_fma_f16 v28, v32, s1, v28
	v_add_f16_e32 v32, v69, v20
	v_add_f16_e32 v20, v20, v21
	v_add3_u32 v8, 0, v8, v41
	v_pack_b32_f16 v9, v14, v24
	v_pack_b32_f16 v10, v60, v25
	v_add_f16_e32 v32, v32, v21
	v_fma_f16 v20, v20, -0.5, v69
	v_sub_f16_e32 v21, v29, v34
	ds_write2_b32 v8, v9, v10 offset0:153 offset1:170
	v_pack_b32_f16 v9, v19, v16
	v_add_f16_e32 v17, v17, v34
	v_fma_f16 v29, v21, s1, v20
	v_add_f16_e32 v34, v42, v35
	ds_write_b32 v8, v9 offset:748
	v_lshlrev_b32_sdwa v8, v5, v59 dst_sel:DWORD dst_unused:UNUSED_PAD src0_sel:DWORD src1_sel:BYTE_0
	v_fma_f16 v20, v21, s0, v20
	v_add_f16_e32 v21, v33, v42
	v_fma_f16 v33, v34, -0.5, v33
	v_sub_f16_e32 v34, v22, v23
	v_add3_u32 v8, 0, v8, v41
	v_pack_b32_f16 v9, v17, v32
	v_pack_b32_f16 v10, v65, v29
	v_fma_f16 v66, v34, s0, v33
	v_fma_f16 v33, v34, s1, v33
	v_add_f16_e32 v34, v72, v22
	v_add_f16_e32 v22, v22, v23
	ds_write2_b32 v8, v9, v10 offset0:204 offset1:221
	v_pack_b32_f16 v9, v28, v20
	v_add_f16_e32 v34, v34, v23
	v_fma_f16 v22, v22, -0.5, v72
	v_sub_f16_e32 v23, v42, v35
	v_add_f16_e32 v42, v43, v46
	ds_write_b32 v8, v9 offset:952
	v_lshlrev_b32_sdwa v8, v5, v61 dst_sel:DWORD dst_unused:UNUSED_PAD src0_sel:DWORD src1_sel:BYTE_0
	v_add_f16_e32 v21, v21, v35
	v_fma_f16 v35, v23, s1, v22
	v_fma_f16 v22, v23, s0, v22
	v_add_f16_e32 v23, v44, v43
	v_fma_f16 v42, v42, -0.5, v44
	v_sub_f16_e32 v44, v26, v27
	v_add3_u32 v8, 0, v8, v41
	v_fma_f16 v67, v44, s0, v42
	v_fma_f16 v42, v44, s1, v42
	v_add_f16_e32 v44, v75, v26
	v_add_f16_e32 v26, v26, v27
	v_pack_b32_f16 v9, v21, v34
	v_pack_b32_f16 v10, v66, v35
	v_add_u32_e32 v11, 0x200, v8
	v_add_f16_e32 v23, v23, v46
	v_add_f16_e32 v44, v44, v27
	v_fma_f16 v26, v26, -0.5, v75
	v_sub_f16_e32 v27, v43, v46
	v_add_f16_e32 v46, v48, v47
	ds_write2_b32 v11, v9, v10 offset0:127 offset1:144
	v_pack_b32_f16 v9, v33, v22
	v_fma_f16 v43, v27, s1, v26
	v_fma_f16 v26, v27, s0, v26
	v_add_f16_e32 v27, v45, v48
	v_fma_f16 v45, v46, -0.5, v45
	v_sub_f16_e32 v46, v30, v31
	ds_write_b32 v8, v9 offset:1156
	v_lshlrev_b32_sdwa v8, v5, v62 dst_sel:DWORD dst_unused:UNUSED_PAD src0_sel:DWORD src1_sel:BYTE_0
	v_fma_f16 v68, v46, s0, v45
	v_fma_f16 v45, v46, s1, v45
	v_add_f16_e32 v46, v78, v30
	v_add_f16_e32 v30, v30, v31
	v_add3_u32 v8, 0, v8, v41
	v_add_f16_e32 v46, v46, v31
	v_fma_f16 v30, v30, -0.5, v78
	v_sub_f16_e32 v31, v48, v47
	v_pack_b32_f16 v9, v23, v44
	v_pack_b32_f16 v10, v67, v43
	v_add_u32_e32 v11, 0x400, v8
	v_lshlrev_b32_sdwa v5, v5, v63 dst_sel:DWORD dst_unused:UNUSED_PAD src0_sel:DWORD src1_sel:BYTE_0
	v_add_f16_e32 v27, v27, v47
	v_fma_f16 v47, v31, s1, v30
	ds_write2_b32 v11, v9, v10 offset0:50 offset1:67
	v_pack_b32_f16 v9, v42, v26
	v_add3_u32 v5, 0, v5, v41
	v_fma_f16 v30, v31, s0, v30
	ds_write_b32 v8, v9 offset:1360
	v_pack_b32_f16 v8, v27, v46
	v_pack_b32_f16 v9, v68, v47
	v_add_u32_e32 v10, 0x400, v5
	ds_write2_b32 v10, v8, v9 offset0:101 offset1:118
	v_pack_b32_f16 v8, v45, v30
	ds_write_b32 v5, v8 offset:1564
	v_mul_u32_u24_e32 v5, 7, v0
	v_pack_b32_f16 v31, v49, v55
	v_pack_b32_f16 v48, v57, v51
	v_lshlrev_b32_e32 v26, 2, v5
	ds_write2_b32 v1, v31, v48 offset1:17
	s_waitcnt lgkmcnt(0)
	; wave barrier
	s_waitcnt lgkmcnt(0)
	global_load_dwordx4 v[8:11], v26, s[8:9] offset:136
	global_load_dwordx3 v[20:22], v26, s[8:9] offset:152
	v_mul_i32_i24_e32 v5, 7, v4
	v_lshlrev_b64 v[12:13], 2, v[5:6]
	v_add_co_u32_e64 v16, s[0:1], s8, v12
	v_addc_co_u32_e64 v17, s[0:1], v50, v13, s[0:1]
	global_load_dwordx4 v[12:15], v[16:17], off offset:136
	ds_read2_b32 v[29:30], v1 offset0:34 offset1:51
	ds_read2_b32 v[31:32], v1 offset0:102 offset1:119
	global_load_dwordx3 v[23:25], v[16:17], off offset:152
	ds_read2_b32 v[33:34], v1 offset0:238 offset1:255
	ds_read2_b32 v[35:36], v40 offset0:50 offset1:67
	;; [unrolled: 1-line block ×5, first 2 shown]
	global_load_dwordx4 v[16:19], v26, s[8:9] offset:1088
	ds_read2_b32 v[47:48], v1 offset0:68 offset1:85
	ds_read_b32 v57, v37
	ds_read_u16 v58, v1 offset:818
	ds_read_b32 v59, v7
	ds_read2_b32 v[49:50], v1 offset0:170 offset1:187
	global_load_dwordx3 v[26:28], v26, s[8:9] offset:1104
	s_waitcnt lgkmcnt(11)
	v_lshrrev_b32_e32 v74, 16, v30
	s_waitcnt lgkmcnt(9)
	v_lshrrev_b32_e32 v5, 16, v34
	;; [unrolled: 2-line block ×5, first 2 shown]
	ds_read2_b32 v[51:52], v40 offset0:16 offset1:33
	v_lshrrev_b32_e32 v61, 16, v32
	ds_read2_b32 v[53:54], v40 offset0:118 offset1:135
	s_waitcnt lgkmcnt(2)
	v_lshrrev_b32_e32 v40, 16, v49
	v_lshrrev_b32_e32 v62, 16, v46
	s_waitcnt lgkmcnt(1)
	v_lshrrev_b32_e32 v63, 16, v51
	v_lshrrev_b32_e32 v64, 16, v36
	;; [unrolled: 3-line block ×3, first 2 shown]
	v_lshrrev_b32_e32 v68, 16, v43
	v_lshrrev_b32_e32 v69, 16, v50
	;; [unrolled: 1-line block ×6, first 2 shown]
	s_mov_b32 s0, 0xb9a8
	s_movk_i32 s1, 0x39a8
	v_lshrrev_b32_e32 v66, 16, v29
	s_waitcnt lgkmcnt(0)
	; wave barrier
	s_waitcnt vmcnt(5)
	v_mul_f16_sdwa v75, v8, v74 dst_sel:DWORD dst_unused:UNUSED_PAD src0_sel:WORD_1 src1_sel:DWORD
	v_fma_f16 v75, v8, v30, -v75
	v_mul_f16_sdwa v30, v8, v30 dst_sel:DWORD dst_unused:UNUSED_PAD src0_sel:WORD_1 src1_sel:DWORD
	v_fma_f16 v8, v8, v74, v30
	v_lshrrev_b32_e32 v30, 16, v31
	v_mul_f16_sdwa v74, v9, v30 dst_sel:DWORD dst_unused:UNUSED_PAD src0_sel:WORD_1 src1_sel:DWORD
	v_fma_f16 v74, v9, v31, -v74
	v_mul_f16_sdwa v31, v9, v31 dst_sel:DWORD dst_unused:UNUSED_PAD src0_sel:WORD_1 src1_sel:DWORD
	v_fma_f16 v9, v9, v30, v31
	v_lshrrev_b32_e32 v30, 16, v44
	v_mul_f16_sdwa v31, v10, v30 dst_sel:DWORD dst_unused:UNUSED_PAD src0_sel:WORD_1 src1_sel:DWORD
	v_fma_f16 v31, v10, v44, -v31
	v_mul_f16_sdwa v44, v10, v44 dst_sel:DWORD dst_unused:UNUSED_PAD src0_sel:WORD_1 src1_sel:DWORD
	v_fma_f16 v10, v10, v30, v44
	v_mul_f16_sdwa v30, v58, v11 dst_sel:DWORD dst_unused:UNUSED_PAD src0_sel:DWORD src1_sel:WORD_1
	v_mul_f16_sdwa v44, v11, v45 dst_sel:DWORD dst_unused:UNUSED_PAD src0_sel:WORD_1 src1_sel:DWORD
	v_fma_f16 v30, v11, v45, -v30
	v_fma_f16 v11, v58, v11, v44
	s_waitcnt vmcnt(4)
	v_mul_f16_sdwa v44, v5, v20 dst_sel:DWORD dst_unused:UNUSED_PAD src0_sel:DWORD src1_sel:WORD_1
	v_fma_f16 v44, v34, v20, -v44
	v_mul_f16_sdwa v34, v34, v20 dst_sel:DWORD dst_unused:UNUSED_PAD src0_sel:DWORD src1_sel:WORD_1
	v_fma_f16 v5, v5, v20, v34
	v_mul_f16_sdwa v20, v55, v21 dst_sel:DWORD dst_unused:UNUSED_PAD src0_sel:DWORD src1_sel:WORD_1
	v_mul_f16_sdwa v34, v35, v21 dst_sel:DWORD dst_unused:UNUSED_PAD src0_sel:DWORD src1_sel:WORD_1
	v_fma_f16 v20, v35, v21, -v20
	v_fma_f16 v21, v55, v21, v34
	v_mul_f16_sdwa v34, v56, v22 dst_sel:DWORD dst_unused:UNUSED_PAD src0_sel:DWORD src1_sel:WORD_1
	v_mul_f16_sdwa v35, v42, v22 dst_sel:DWORD dst_unused:UNUSED_PAD src0_sel:DWORD src1_sel:WORD_1
	v_fma_f16 v34, v42, v22, -v34
	v_fma_f16 v22, v56, v22, v35
	s_waitcnt vmcnt(3)
	v_mul_f16_sdwa v35, v60, v12 dst_sel:DWORD dst_unused:UNUSED_PAD src0_sel:DWORD src1_sel:WORD_1
	v_mul_f16_sdwa v42, v47, v12 dst_sel:DWORD dst_unused:UNUSED_PAD src0_sel:DWORD src1_sel:WORD_1
	v_fma_f16 v35, v47, v12, -v35
	v_fma_f16 v12, v60, v12, v42
	v_mul_f16_sdwa v42, v61, v13 dst_sel:DWORD dst_unused:UNUSED_PAD src0_sel:DWORD src1_sel:WORD_1
	v_fma_f16 v42, v32, v13, -v42
	v_mul_f16_sdwa v32, v32, v13 dst_sel:DWORD dst_unused:UNUSED_PAD src0_sel:DWORD src1_sel:WORD_1
	v_fma_f16 v13, v61, v13, v32
	v_mul_f16_sdwa v32, v40, v14 dst_sel:DWORD dst_unused:UNUSED_PAD src0_sel:DWORD src1_sel:WORD_1
	v_mul_f16_sdwa v45, v49, v14 dst_sel:DWORD dst_unused:UNUSED_PAD src0_sel:DWORD src1_sel:WORD_1
	v_fma_f16 v32, v49, v14, -v32
	v_fma_f16 v14, v40, v14, v45
	v_mul_f16_sdwa v40, v62, v15 dst_sel:DWORD dst_unused:UNUSED_PAD src0_sel:DWORD src1_sel:WORD_1
	v_mul_f16_sdwa v45, v46, v15 dst_sel:DWORD dst_unused:UNUSED_PAD src0_sel:DWORD src1_sel:WORD_1
	v_fma_f16 v40, v46, v15, -v40
	v_fma_f16 v15, v62, v15, v45
	s_waitcnt vmcnt(2)
	v_mul_f16_sdwa v45, v63, v23 dst_sel:DWORD dst_unused:UNUSED_PAD src0_sel:DWORD src1_sel:WORD_1
	v_mul_f16_sdwa v46, v51, v23 dst_sel:DWORD dst_unused:UNUSED_PAD src0_sel:DWORD src1_sel:WORD_1
	v_fma_f16 v45, v51, v23, -v45
	v_fma_f16 v23, v63, v23, v46
	v_mul_f16_sdwa v46, v64, v24 dst_sel:DWORD dst_unused:UNUSED_PAD src0_sel:DWORD src1_sel:WORD_1
	v_fma_f16 v46, v36, v24, -v46
	v_mul_f16_sdwa v36, v36, v24 dst_sel:DWORD dst_unused:UNUSED_PAD src0_sel:DWORD src1_sel:WORD_1
	v_fma_f16 v24, v64, v24, v36
	v_mul_f16_sdwa v36, v65, v25 dst_sel:DWORD dst_unused:UNUSED_PAD src0_sel:DWORD src1_sel:WORD_1
	v_mul_f16_sdwa v47, v53, v25 dst_sel:DWORD dst_unused:UNUSED_PAD src0_sel:DWORD src1_sel:WORD_1
	v_fma_f16 v36, v53, v25, -v36
	v_fma_f16 v25, v65, v25, v47
	s_waitcnt vmcnt(1)
	v_mul_f16_sdwa v47, v67, v16 dst_sel:DWORD dst_unused:UNUSED_PAD src0_sel:DWORD src1_sel:WORD_1
	v_fma_f16 v47, v48, v16, -v47
	v_mul_f16_sdwa v48, v48, v16 dst_sel:DWORD dst_unused:UNUSED_PAD src0_sel:DWORD src1_sel:WORD_1
	v_fma_f16 v16, v67, v16, v48
	v_mul_f16_sdwa v48, v68, v17 dst_sel:DWORD dst_unused:UNUSED_PAD src0_sel:DWORD src1_sel:WORD_1
	v_fma_f16 v48, v43, v17, -v48
	v_mul_f16_sdwa v43, v43, v17 dst_sel:DWORD dst_unused:UNUSED_PAD src0_sel:DWORD src1_sel:WORD_1
	v_fma_f16 v17, v68, v17, v43
	v_mul_f16_sdwa v43, v69, v18 dst_sel:DWORD dst_unused:UNUSED_PAD src0_sel:DWORD src1_sel:WORD_1
	v_mul_f16_sdwa v49, v50, v18 dst_sel:DWORD dst_unused:UNUSED_PAD src0_sel:DWORD src1_sel:WORD_1
	v_fma_f16 v43, v50, v18, -v43
	v_fma_f16 v18, v69, v18, v49
	v_mul_f16_sdwa v49, v70, v19 dst_sel:DWORD dst_unused:UNUSED_PAD src0_sel:DWORD src1_sel:WORD_1
	v_fma_f16 v49, v33, v19, -v49
	v_mul_f16_sdwa v33, v33, v19 dst_sel:DWORD dst_unused:UNUSED_PAD src0_sel:DWORD src1_sel:WORD_1
	v_fma_f16 v19, v70, v19, v33
	s_waitcnt vmcnt(0)
	v_mul_f16_sdwa v33, v71, v26 dst_sel:DWORD dst_unused:UNUSED_PAD src0_sel:DWORD src1_sel:WORD_1
	v_mul_f16_sdwa v50, v52, v26 dst_sel:DWORD dst_unused:UNUSED_PAD src0_sel:DWORD src1_sel:WORD_1
	v_fma_f16 v33, v52, v26, -v33
	v_fma_f16 v26, v71, v26, v50
	v_mul_f16_sdwa v50, v72, v27 dst_sel:DWORD dst_unused:UNUSED_PAD src0_sel:DWORD src1_sel:WORD_1
	v_fma_f16 v50, v41, v27, -v50
	v_mul_f16_sdwa v41, v41, v27 dst_sel:DWORD dst_unused:UNUSED_PAD src0_sel:DWORD src1_sel:WORD_1
	v_fma_f16 v27, v72, v27, v41
	v_mul_f16_sdwa v41, v73, v28 dst_sel:DWORD dst_unused:UNUSED_PAD src0_sel:DWORD src1_sel:WORD_1
	v_mul_f16_sdwa v51, v54, v28 dst_sel:DWORD dst_unused:UNUSED_PAD src0_sel:DWORD src1_sel:WORD_1
	v_fma_f16 v41, v54, v28, -v41
	v_fma_f16 v28, v73, v28, v51
	v_lshrrev_b32_e32 v51, 16, v57
	v_sub_f16_e32 v30, v57, v30
	v_sub_f16_e32 v21, v9, v21
	;; [unrolled: 1-line block ×6, first 2 shown]
	v_fma_f16 v9, v9, 2.0, -v21
	v_sub_f16_e32 v5, v8, v5
	v_sub_f16_e32 v34, v31, v34
	v_fma_f16 v10, v10, 2.0, -v22
	v_sub_f16_e32 v21, v30, v21
	v_sub_f16_e32 v22, v44, v22
	v_fma_f16 v52, v57, 2.0, -v30
	v_fma_f16 v53, v74, 2.0, -v20
	;; [unrolled: 1-line block ×4, first 2 shown]
	v_add_f16_e32 v20, v11, v20
	v_fma_f16 v30, v30, 2.0, -v21
	v_add_f16_e32 v34, v5, v34
	v_fma_f16 v44, v44, 2.0, -v22
	v_fma_f16 v51, v51, 2.0, -v11
	;; [unrolled: 1-line block ×5, first 2 shown]
	v_fma_f16 v55, v44, s0, v30
	v_fma_f16 v56, v5, s0, v11
	;; [unrolled: 1-line block ×7, first 2 shown]
	v_lshrrev_b32_e32 v55, 16, v59
	v_sub_f16_e32 v40, v59, v40
	v_sub_f16_e32 v15, v55, v15
	;; [unrolled: 1-line block ×8, first 2 shown]
	v_fma_f16 v22, v22, s1, v56
	v_fma_f16 v56, v59, 2.0, -v40
	v_fma_f16 v55, v55, 2.0, -v15
	;; [unrolled: 1-line block ×8, first 2 shown]
	v_sub_f16_e32 v24, v40, v24
	v_add_f16_e32 v46, v15, v46
	v_sub_f16_e32 v25, v45, v25
	v_add_f16_e32 v36, v23, v36
	v_sub_f16_e32 v53, v52, v53
	v_sub_f16_e32 v9, v51, v9
	;; [unrolled: 1-line block ×6, first 2 shown]
	v_fma_f16 v40, v40, 2.0, -v24
	v_fma_f16 v15, v15, 2.0, -v46
	v_sub_f16_e32 v32, v35, v32
	v_sub_f16_e32 v14, v12, v14
	v_fma_f16 v45, v45, 2.0, -v25
	v_fma_f16 v23, v23, 2.0, -v36
	;; [unrolled: 1-line block ×7, first 2 shown]
	v_sub_f16_e32 v10, v53, v10
	v_add_f16_e32 v31, v9, v31
	v_fma_f16 v56, v56, 2.0, -v42
	v_fma_f16 v55, v55, 2.0, -v13
	;; [unrolled: 1-line block ×4, first 2 shown]
	v_fma_f16 v57, v45, s0, v40
	v_fma_f16 v58, v23, s0, v15
	v_pack_b32_f16 v5, v5, v44
	v_sub_f16_e32 v54, v52, v54
	v_sub_f16_e32 v8, v51, v8
	v_fma_f16 v53, v53, 2.0, -v10
	v_fma_f16 v9, v9, 2.0, -v31
	v_sub_f16_e32 v35, v56, v35
	v_sub_f16_e32 v12, v55, v12
	v_fma_f16 v23, v23, s0, v57
	v_fma_f16 v45, v45, s1, v58
	;; [unrolled: 1-line block ×4, first 2 shown]
	v_sub_f16_e32 v49, v29, v49
	v_sub_f16_e32 v19, v66, v19
	;; [unrolled: 1-line block ×8, first 2 shown]
	ds_write_b32 v1, v5 offset:1020
	v_pack_b32_f16 v5, v10, v31
	v_fma_f16 v52, v52, 2.0, -v54
	v_fma_f16 v51, v51, 2.0, -v8
	;; [unrolled: 1-line block ×9, first 2 shown]
	v_sub_f16_e32 v14, v42, v14
	v_add_f16_e32 v32, v13, v32
	v_fma_f16 v36, v36, s0, v57
	v_fma_f16 v25, v25, s1, v58
	v_fma_f16 v29, v29, 2.0, -v49
	v_fma_f16 v57, v66, 2.0, -v19
	;; [unrolled: 1-line block ×8, first 2 shown]
	v_pack_b32_f16 v9, v53, v9
	v_pack_b32_f16 v8, v54, v8
	ds_write_b32 v1, v5 offset:1224
	v_pack_b32_f16 v5, v34, v22
	v_fma_f16 v42, v42, 2.0, -v14
	v_fma_f16 v13, v13, 2.0, -v32
	;; [unrolled: 1-line block ×4, first 2 shown]
	v_sub_f16_e32 v48, v29, v48
	v_sub_f16_e32 v17, v57, v17
	;; [unrolled: 1-line block ×3, first 2 shown]
	v_add_f16_e32 v50, v19, v50
	v_sub_f16_e32 v43, v47, v43
	v_sub_f16_e32 v18, v16, v18
	;; [unrolled: 1-line block ×3, first 2 shown]
	v_add_f16_e32 v41, v26, v41
	v_pack_b32_f16 v51, v52, v51
	v_pack_b32_f16 v11, v30, v11
	ds_write_b32 v1, v9 offset:408
	v_pack_b32_f16 v9, v21, v20
	ds_write_b32 v1, v8 offset:816
	ds_write_b32 v1, v5 offset:1428
	v_pack_b32_f16 v5, v56, v55
	v_pack_b32_f16 v8, v40, v15
	v_fma_f16 v29, v29, 2.0, -v48
	v_fma_f16 v57, v57, 2.0, -v17
	;; [unrolled: 1-line block ×8, first 2 shown]
	ds_write_b32 v1, v51
	ds_write_b32 v1, v11 offset:204
	ds_write_b32 v1, v9 offset:612
	ds_write2_b32 v7, v5, v8 offset1:51
	v_pack_b32_f16 v5, v42, v13
	v_pack_b32_f16 v8, v24, v46
	v_sub_f16_e32 v47, v29, v47
	v_sub_f16_e32 v16, v57, v16
	v_fma_f16 v58, v33, s0, v49
	v_fma_f16 v59, v26, s0, v19
	ds_write2_b32 v7, v5, v8 offset0:102 offset1:153
	v_pack_b32_f16 v5, v35, v12
	v_pack_b32_f16 v8, v23, v45
	v_fma_f16 v29, v29, 2.0, -v47
	v_fma_f16 v57, v57, 2.0, -v16
	v_fma_f16 v26, v26, s0, v58
	v_fma_f16 v33, v33, s1, v59
	ds_write2_b32 v7, v5, v8 offset0:204 offset1:255
	v_pack_b32_f16 v5, v14, v32
	v_pack_b32_f16 v8, v36, v25
	v_add_u32_e32 v7, 0x400, v7
	v_fma_f16 v49, v49, 2.0, -v26
	v_fma_f16 v19, v19, 2.0, -v33
	v_sub_f16_e32 v18, v48, v18
	v_add_f16_e32 v43, v17, v43
	v_fma_f16 v58, v28, s1, v27
	v_fma_f16 v59, v41, s1, v50
	ds_write2_b32 v7, v5, v8 offset0:50 offset1:101
	v_pack_b32_f16 v5, v29, v57
	v_fma_f16 v48, v48, 2.0, -v18
	v_fma_f16 v17, v17, 2.0, -v43
	v_fma_f16 v41, v41, s0, v58
	v_fma_f16 v28, v28, s1, v59
	ds_write_b32 v1, v5 offset:136
	v_pack_b32_f16 v5, v49, v19
	v_fma_f16 v27, v27, 2.0, -v41
	v_fma_f16 v50, v50, 2.0, -v28
	ds_write_b32 v1, v5 offset:340
	v_pack_b32_f16 v5, v48, v17
	ds_write_b32 v1, v5 offset:544
	v_pack_b32_f16 v5, v27, v50
	;; [unrolled: 2-line block ×6, first 2 shown]
	ds_write_b32 v1, v5 offset:1564
	s_waitcnt lgkmcnt(0)
	; wave barrier
	s_waitcnt lgkmcnt(0)
	ds_read_b32 v5, v37
	v_sub_u32_e32 v9, v38, v39
	v_cmp_ne_u32_e64 s[0:1], 0, v0
                                        ; implicit-def: $vgpr12
                                        ; implicit-def: $vgpr10
                                        ; implicit-def: $vgpr11
                                        ; implicit-def: $vgpr7_vgpr8
	s_and_saveexec_b64 s[4:5], s[0:1]
	s_xor_b64 s[4:5], exec, s[4:5]
	s_cbranch_execz .LBB0_16
; %bb.15:
	v_mov_b32_e32 v1, v6
	v_lshlrev_b64 v[6:7], 2, v[0:1]
	v_mov_b32_e32 v8, s9
	v_add_co_u32_e64 v6, s[0:1], s8, v6
	v_addc_co_u32_e64 v7, s[0:1], v8, v7, s[0:1]
	global_load_dword v6, v[6:7], off offset:1564
	ds_read_b32 v7, v9 offset:1632
	s_waitcnt lgkmcnt(0)
	v_add_f16_sdwa v10, v7, v5 dst_sel:DWORD dst_unused:UNUSED_PAD src0_sel:WORD_1 src1_sel:WORD_1
	v_sub_f16_e32 v11, v5, v7
	v_add_f16_e32 v8, v7, v5
	v_sub_f16_sdwa v5, v5, v7 dst_sel:DWORD dst_unused:UNUSED_PAD src0_sel:WORD_1 src1_sel:WORD_1
	v_mul_f16_e32 v7, 0.5, v10
	v_mul_f16_e32 v10, 0.5, v11
	;; [unrolled: 1-line block ×3, first 2 shown]
	s_waitcnt vmcnt(0)
	v_lshrrev_b32_e32 v11, 16, v6
	v_mul_f16_e32 v12, v11, v10
	v_fma_f16 v13, v7, v11, v5
	v_fma_f16 v5, v7, v11, -v5
	v_fma_f16 v14, v8, 0.5, v12
	v_fma_f16 v8, v8, 0.5, -v12
	v_fma_f16 v11, -v6, v10, v13
	v_fma_f16 v12, -v6, v10, v5
	v_fma_f16 v5, v6, v7, v14
	v_fma_f16 v10, -v6, v7, v8
	v_mov_b32_e32 v8, v1
	ds_write_b16 v37, v5
	v_mov_b32_e32 v7, v0
                                        ; implicit-def: $vgpr5
.LBB0_16:
	s_andn2_saveexec_b64 s[0:1], s[4:5]
	s_cbranch_execz .LBB0_18
; %bb.17:
	ds_read_u16 v1, v38 offset:818
	v_mov_b32_e32 v7, 0
	s_waitcnt lgkmcnt(1)
	v_add_f16_sdwa v6, v5, v5 dst_sel:DWORD dst_unused:UNUSED_PAD src0_sel:WORD_1 src1_sel:DWORD
	v_sub_f16_sdwa v10, v5, v5 dst_sel:DWORD dst_unused:UNUSED_PAD src0_sel:DWORD src1_sel:WORD_1
	v_mov_b32_e32 v8, 0
	s_waitcnt lgkmcnt(0)
	v_xor_b32_e32 v1, 0x8000, v1
	v_mov_b32_e32 v11, 0
	v_mov_b32_e32 v12, 0
	ds_write_b16 v37, v6
	ds_write_b16 v38, v1 offset:818
.LBB0_18:
	s_or_b64 exec, exec, s[0:1]
	s_waitcnt lgkmcnt(0)
	v_mov_b32_e32 v5, 0
	v_lshlrev_b64 v[5:6], 2, v[4:5]
	v_mov_b32_e32 v1, s9
	v_add_co_u32_e64 v5, s[0:1], s8, v5
	v_addc_co_u32_e64 v6, s[0:1], v1, v6, s[0:1]
	global_load_dword v1, v[5:6], off offset:1564
	s_add_u32 s0, s8, 0x61c
	v_lshlrev_b64 v[5:6], 2, v[7:8]
	s_addc_u32 s1, s9, 0
	v_mov_b32_e32 v8, s1
	v_add_co_u32_e64 v7, s[0:1], s0, v5
	v_addc_co_u32_e64 v8, s[0:1], v8, v6, s[0:1]
	global_load_dword v13, v[7:8], off offset:136
	global_load_dword v14, v[7:8], off offset:204
	s_mov_b32 s1, 0x5040100
	v_perm_b32 v10, v12, v10, s1
	ds_write_b16 v37, v11 offset:2
	v_lshl_add_u32 v4, v4, 2, v38
	ds_write_b32 v9, v10 offset:1632
	ds_read_b32 v10, v4
	ds_read_b32 v11, v9 offset:1564
	global_load_dword v12, v[7:8], off offset:272
	global_load_dword v15, v[7:8], off offset:340
	;; [unrolled: 1-line block ×5, first 2 shown]
	s_mov_b32 s0, 0xffff
	s_waitcnt lgkmcnt(0)
	v_pk_add_f16 v19, v10, v11 neg_lo:[0,1] neg_hi:[0,1]
	v_pk_add_f16 v10, v10, v11
	v_bfi_b32 v11, s0, v19, v10
	v_bfi_b32 v10, s0, v10, v19
	v_pk_mul_f16 v11, v11, 0.5 op_sel_hi:[1,0]
	v_pk_mul_f16 v10, v10, 0.5 op_sel_hi:[1,0]
	s_waitcnt vmcnt(7)
	v_pk_fma_f16 v19, v1, v11, v10 op_sel:[1,0,0]
	v_pk_mul_f16 v20, v1, v11 op_sel_hi:[0,1]
	v_pk_fma_f16 v21, v1, v11, v10 op_sel:[1,0,0] neg_lo:[1,0,0] neg_hi:[1,0,0]
	v_pk_fma_f16 v1, v1, v11, v10 op_sel:[1,0,0] neg_lo:[0,0,1] neg_hi:[0,0,1]
	v_pk_add_f16 v10, v19, v20 op_sel:[0,1] op_sel_hi:[1,0]
	v_pk_add_f16 v11, v19, v20 op_sel:[0,1] op_sel_hi:[1,0] neg_lo:[0,1] neg_hi:[0,1]
	v_pk_add_f16 v19, v21, v20 op_sel:[0,1] op_sel_hi:[1,0] neg_lo:[0,1] neg_hi:[0,1]
	;; [unrolled: 1-line block ×3, first 2 shown]
	v_bfi_b32 v10, s0, v10, v11
	v_bfi_b32 v1, s0, v19, v1
	ds_write_b32 v4, v10
	ds_write_b32 v9, v1 offset:1564
	ds_read_b32 v1, v37 offset:136
	ds_read_b32 v4, v9 offset:1496
	s_waitcnt lgkmcnt(0)
	v_pk_add_f16 v10, v1, v4 neg_lo:[0,1] neg_hi:[0,1]
	v_pk_add_f16 v1, v1, v4
	v_bfi_b32 v4, s0, v10, v1
	v_bfi_b32 v1, s0, v1, v10
	v_pk_mul_f16 v4, v4, 0.5 op_sel_hi:[1,0]
	v_pk_mul_f16 v1, v1, 0.5 op_sel_hi:[1,0]
	s_waitcnt vmcnt(6)
	v_pk_fma_f16 v10, v13, v4, v1 op_sel:[1,0,0]
	v_pk_mul_f16 v11, v13, v4 op_sel_hi:[0,1]
	v_pk_fma_f16 v19, v13, v4, v1 op_sel:[1,0,0] neg_lo:[1,0,0] neg_hi:[1,0,0]
	v_pk_fma_f16 v1, v13, v4, v1 op_sel:[1,0,0] neg_lo:[0,0,1] neg_hi:[0,0,1]
	v_pk_add_f16 v4, v10, v11 op_sel:[0,1] op_sel_hi:[1,0]
	v_pk_add_f16 v10, v10, v11 op_sel:[0,1] op_sel_hi:[1,0] neg_lo:[0,1] neg_hi:[0,1]
	v_pk_add_f16 v13, v19, v11 op_sel:[0,1] op_sel_hi:[1,0] neg_lo:[0,1] neg_hi:[0,1]
	v_pk_add_f16 v1, v1, v11 op_sel:[0,1] op_sel_hi:[1,0] neg_lo:[0,1] neg_hi:[0,1]
	v_bfi_b32 v4, s0, v4, v10
	v_bfi_b32 v1, s0, v13, v1
	ds_write_b32 v37, v4 offset:136
	ds_write_b32 v9, v1 offset:1496
	ds_read_b32 v1, v37 offset:204
	ds_read_b32 v4, v9 offset:1428
	s_waitcnt lgkmcnt(0)
	v_pk_add_f16 v10, v1, v4 neg_lo:[0,1] neg_hi:[0,1]
	v_pk_add_f16 v1, v1, v4
	v_bfi_b32 v4, s0, v10, v1
	v_bfi_b32 v1, s0, v1, v10
	v_pk_mul_f16 v4, v4, 0.5 op_sel_hi:[1,0]
	v_pk_mul_f16 v1, v1, 0.5 op_sel_hi:[1,0]
	s_waitcnt vmcnt(5)
	v_pk_fma_f16 v10, v14, v4, v1 op_sel:[1,0,0]
	v_pk_mul_f16 v11, v14, v4 op_sel_hi:[0,1]
	v_pk_fma_f16 v13, v14, v4, v1 op_sel:[1,0,0] neg_lo:[1,0,0] neg_hi:[1,0,0]
	v_pk_fma_f16 v1, v14, v4, v1 op_sel:[1,0,0] neg_lo:[0,0,1] neg_hi:[0,0,1]
	v_pk_add_f16 v4, v10, v11 op_sel:[0,1] op_sel_hi:[1,0]
	v_pk_add_f16 v10, v10, v11 op_sel:[0,1] op_sel_hi:[1,0] neg_lo:[0,1] neg_hi:[0,1]
	v_pk_add_f16 v13, v13, v11 op_sel:[0,1] op_sel_hi:[1,0] neg_lo:[0,1] neg_hi:[0,1]
	v_pk_add_f16 v1, v1, v11 op_sel:[0,1] op_sel_hi:[1,0] neg_lo:[0,1] neg_hi:[0,1]
	v_bfi_b32 v4, s0, v4, v10
	v_bfi_b32 v1, s0, v13, v1
	ds_write_b32 v37, v4 offset:204
	;; [unrolled: 22-line block ×4, first 2 shown]
	ds_write_b32 v9, v1 offset:1292
	ds_read_b32 v1, v37 offset:408
	ds_read_b32 v4, v9 offset:1224
	global_load_dword v10, v[7:8], off offset:612
	s_waitcnt lgkmcnt(0)
	v_pk_add_f16 v11, v1, v4 neg_lo:[0,1] neg_hi:[0,1]
	v_pk_add_f16 v1, v1, v4
	v_bfi_b32 v4, s0, v11, v1
	v_bfi_b32 v1, s0, v1, v11
	v_pk_mul_f16 v4, v4, 0.5 op_sel_hi:[1,0]
	v_pk_mul_f16 v1, v1, 0.5 op_sel_hi:[1,0]
	s_waitcnt vmcnt(3)
	v_pk_fma_f16 v11, v16, v4, v1 op_sel:[1,0,0]
	v_pk_mul_f16 v12, v16, v4 op_sel_hi:[0,1]
	v_pk_fma_f16 v13, v16, v4, v1 op_sel:[1,0,0] neg_lo:[1,0,0] neg_hi:[1,0,0]
	v_pk_fma_f16 v1, v16, v4, v1 op_sel:[1,0,0] neg_lo:[0,0,1] neg_hi:[0,0,1]
	v_pk_add_f16 v4, v11, v12 op_sel:[0,1] op_sel_hi:[1,0]
	v_pk_add_f16 v11, v11, v12 op_sel:[0,1] op_sel_hi:[1,0] neg_lo:[0,1] neg_hi:[0,1]
	v_pk_add_f16 v13, v13, v12 op_sel:[0,1] op_sel_hi:[1,0] neg_lo:[0,1] neg_hi:[0,1]
	;; [unrolled: 1-line block ×3, first 2 shown]
	v_bfi_b32 v4, s0, v4, v11
	v_bfi_b32 v1, s0, v13, v1
	ds_write_b32 v37, v4 offset:408
	ds_write_b32 v9, v1 offset:1224
	ds_read_b32 v1, v37 offset:476
	ds_read_b32 v4, v9 offset:1156
	global_load_dword v11, v[7:8], off offset:680
	s_waitcnt lgkmcnt(0)
	v_pk_add_f16 v12, v1, v4 neg_lo:[0,1] neg_hi:[0,1]
	v_pk_add_f16 v1, v1, v4
	v_bfi_b32 v4, s0, v12, v1
	v_bfi_b32 v1, s0, v1, v12
	v_pk_mul_f16 v4, v4, 0.5 op_sel_hi:[1,0]
	v_pk_mul_f16 v1, v1, 0.5 op_sel_hi:[1,0]
	s_waitcnt vmcnt(3)
	v_pk_fma_f16 v12, v17, v4, v1 op_sel:[1,0,0]
	v_pk_mul_f16 v13, v17, v4 op_sel_hi:[0,1]
	v_pk_add_f16 v14, v12, v13 op_sel:[0,1] op_sel_hi:[1,0]
	v_pk_add_f16 v12, v12, v13 op_sel:[0,1] op_sel_hi:[1,0] neg_lo:[0,1] neg_hi:[0,1]
	v_bfi_b32 v12, s0, v14, v12
	ds_write_b32 v37, v12 offset:476
	v_pk_fma_f16 v12, v17, v4, v1 op_sel:[1,0,0] neg_lo:[1,0,0] neg_hi:[1,0,0]
	v_pk_fma_f16 v1, v17, v4, v1 op_sel:[1,0,0] neg_lo:[0,0,1] neg_hi:[0,0,1]
	v_pk_add_f16 v12, v12, v13 op_sel:[0,1] op_sel_hi:[1,0] neg_lo:[0,1] neg_hi:[0,1]
	v_pk_add_f16 v1, v1, v13 op_sel:[0,1] op_sel_hi:[1,0] neg_lo:[0,1] neg_hi:[0,1]
	v_bfi_b32 v1, s0, v12, v1
	ds_write_b32 v9, v1 offset:1156
	ds_read_b32 v1, v37 offset:544
	ds_read_b32 v4, v9 offset:1088
	global_load_dword v12, v[7:8], off offset:748
	s_waitcnt lgkmcnt(0)
	v_pk_add_f16 v7, v1, v4 neg_lo:[0,1] neg_hi:[0,1]
	v_pk_add_f16 v1, v1, v4
	v_bfi_b32 v4, s0, v7, v1
	v_bfi_b32 v1, s0, v1, v7
	v_pk_mul_f16 v4, v4, 0.5 op_sel_hi:[1,0]
	v_pk_mul_f16 v1, v1, 0.5 op_sel_hi:[1,0]
	s_waitcnt vmcnt(3)
	v_pk_fma_f16 v7, v18, v4, v1 op_sel:[1,0,0]
	v_pk_mul_f16 v8, v18, v4 op_sel_hi:[0,1]
	v_pk_add_f16 v13, v7, v8 op_sel:[0,1] op_sel_hi:[1,0]
	v_pk_add_f16 v7, v7, v8 op_sel:[0,1] op_sel_hi:[1,0] neg_lo:[0,1] neg_hi:[0,1]
	v_bfi_b32 v7, s0, v13, v7
	ds_write_b32 v37, v7 offset:544
	v_pk_fma_f16 v7, v18, v4, v1 op_sel:[1,0,0] neg_lo:[1,0,0] neg_hi:[1,0,0]
	v_pk_fma_f16 v1, v18, v4, v1 op_sel:[1,0,0] neg_lo:[0,0,1] neg_hi:[0,0,1]
	v_pk_add_f16 v7, v7, v8 op_sel:[0,1] op_sel_hi:[1,0] neg_lo:[0,1] neg_hi:[0,1]
	v_pk_add_f16 v1, v1, v8 op_sel:[0,1] op_sel_hi:[1,0] neg_lo:[0,1] neg_hi:[0,1]
	v_bfi_b32 v1, s0, v7, v1
	ds_write_b32 v9, v1 offset:1088
	v_xor_b32_e32 v1, 0xff, v0
	v_lshl_add_u32 v1, v1, 2, v38
	ds_read2_b32 v[7:8], v37 offset0:153 offset1:170
	ds_read_b32 v4, v1
	s_waitcnt lgkmcnt(0)
	v_pk_add_f16 v13, v7, v4 neg_lo:[0,1] neg_hi:[0,1]
	v_pk_add_f16 v4, v7, v4
	v_bfi_b32 v7, s0, v13, v4
	v_pk_mul_f16 v7, v7, 0.5 op_sel_hi:[1,0]
	v_bfi_b32 v4, s0, v4, v13
	s_waitcnt vmcnt(2)
	v_pk_mul_f16 v14, v10, v7 op_sel:[1,0]
	v_pk_mul_f16 v13, v4, 0.5 op_sel_hi:[1,0]
	v_pk_fma_f16 v4, v4, 0.5, v14 op_sel_hi:[1,0,1]
	v_pk_mul_f16 v7, v10, v7 op_sel_hi:[0,1]
	v_pk_add_f16 v10, v4, v7 op_sel:[0,1] op_sel_hi:[1,0]
	v_pk_add_f16 v4, v4, v7 op_sel:[0,1] op_sel_hi:[1,0] neg_lo:[0,1] neg_hi:[0,1]
	v_bfi_b32 v4, s0, v10, v4
	ds_write_b32 v37, v4 offset:612
	v_bfi_b32 v4, s0, v13, v14
	v_bfi_b32 v10, s0, v14, v13
	v_pk_add_f16 v4, v4, v10 neg_lo:[0,1] neg_hi:[0,1]
	v_pk_add_f16 v4, v4, v7 op_sel:[0,1] op_sel_hi:[1,0] neg_lo:[0,1] neg_hi:[0,1]
	ds_write_b32 v1, v4
	ds_read_b32 v1, v9 offset:952
	s_waitcnt lgkmcnt(0)
	v_pk_add_f16 v4, v8, v1 neg_lo:[0,1] neg_hi:[0,1]
	v_pk_add_f16 v1, v8, v1
	v_bfi_b32 v7, s0, v4, v1
	v_bfi_b32 v1, s0, v1, v4
	v_pk_mul_f16 v4, v7, 0.5 op_sel_hi:[1,0]
	v_pk_mul_f16 v1, v1, 0.5 op_sel_hi:[1,0]
	s_waitcnt vmcnt(1)
	v_pk_fma_f16 v7, v11, v4, v1 op_sel:[1,0,0]
	v_pk_mul_f16 v8, v11, v4 op_sel_hi:[0,1]
	v_pk_add_f16 v10, v7, v8 op_sel:[0,1] op_sel_hi:[1,0]
	v_pk_add_f16 v7, v7, v8 op_sel:[0,1] op_sel_hi:[1,0] neg_lo:[0,1] neg_hi:[0,1]
	v_bfi_b32 v7, s0, v10, v7
	ds_write_b32 v37, v7 offset:680
	v_pk_fma_f16 v7, v11, v4, v1 op_sel:[1,0,0] neg_lo:[1,0,0] neg_hi:[1,0,0]
	v_pk_fma_f16 v1, v11, v4, v1 op_sel:[1,0,0] neg_lo:[0,0,1] neg_hi:[0,0,1]
	v_pk_add_f16 v7, v7, v8 op_sel:[0,1] op_sel_hi:[1,0] neg_lo:[0,1] neg_hi:[0,1]
	v_pk_add_f16 v1, v1, v8 op_sel:[0,1] op_sel_hi:[1,0] neg_lo:[0,1] neg_hi:[0,1]
	v_bfi_b32 v1, s0, v7, v1
	ds_write_b32 v9, v1 offset:952
	ds_read_b32 v1, v37 offset:748
	ds_read_b32 v4, v9 offset:884
	s_waitcnt lgkmcnt(0)
	v_pk_add_f16 v7, v1, v4 neg_lo:[0,1] neg_hi:[0,1]
	v_pk_add_f16 v1, v1, v4
	v_bfi_b32 v4, s0, v7, v1
	v_bfi_b32 v1, s0, v1, v7
	v_pk_mul_f16 v4, v4, 0.5 op_sel_hi:[1,0]
	v_pk_mul_f16 v1, v1, 0.5 op_sel_hi:[1,0]
	s_waitcnt vmcnt(0)
	v_pk_fma_f16 v7, v12, v4, v1 op_sel:[1,0,0]
	v_pk_mul_f16 v8, v12, v4 op_sel_hi:[0,1]
	v_pk_add_f16 v10, v7, v8 op_sel:[0,1] op_sel_hi:[1,0]
	v_pk_add_f16 v7, v7, v8 op_sel:[0,1] op_sel_hi:[1,0] neg_lo:[0,1] neg_hi:[0,1]
	v_bfi_b32 v7, s0, v10, v7
	ds_write_b32 v37, v7 offset:748
	v_pk_fma_f16 v7, v12, v4, v1 op_sel:[1,0,0] neg_lo:[1,0,0] neg_hi:[1,0,0]
	v_pk_fma_f16 v1, v12, v4, v1 op_sel:[1,0,0] neg_lo:[0,0,1] neg_hi:[0,0,1]
	v_pk_add_f16 v7, v7, v8 op_sel:[0,1] op_sel_hi:[1,0] neg_lo:[0,1] neg_hi:[0,1]
	v_pk_add_f16 v1, v1, v8 op_sel:[0,1] op_sel_hi:[1,0] neg_lo:[0,1] neg_hi:[0,1]
	v_bfi_b32 v1, s0, v7, v1
	ds_write_b32 v9, v1 offset:884
	s_waitcnt lgkmcnt(0)
	; wave barrier
	s_waitcnt lgkmcnt(0)
	s_and_saveexec_b64 s[0:1], vcc
	s_cbranch_execz .LBB0_21
; %bb.19:
	ds_read2_b32 v[7:8], v37 offset1:17
	v_mov_b32_e32 v4, s3
	v_add_co_u32_e32 v1, vcc, s2, v2
	v_addc_co_u32_e32 v2, vcc, v4, v3, vcc
	ds_read2_b32 v[3:4], v37 offset0:34 offset1:51
	v_add_co_u32_e32 v5, vcc, v1, v5
	v_addc_co_u32_e32 v6, vcc, v2, v6, vcc
	s_waitcnt lgkmcnt(1)
	global_store_dword v[5:6], v7, off
	ds_read2_b32 v[9:10], v37 offset0:68 offset1:85
	global_store_dword v[5:6], v8, off offset:68
	s_waitcnt lgkmcnt(1)
	global_store_dword v[5:6], v3, off offset:136
	ds_read2_b32 v[7:8], v37 offset0:102 offset1:119
	global_store_dword v[5:6], v4, off offset:204
	s_waitcnt lgkmcnt(1)
	global_store_dword v[5:6], v9, off offset:272
	ds_read2_b32 v[3:4], v37 offset0:136 offset1:153
	global_store_dword v[5:6], v10, off offset:340
	s_waitcnt lgkmcnt(1)
	global_store_dword v[5:6], v7, off offset:408
	ds_read2_b32 v[9:10], v37 offset0:170 offset1:187
	global_store_dword v[5:6], v8, off offset:476
	s_waitcnt lgkmcnt(1)
	global_store_dword v[5:6], v3, off offset:544
	ds_read2_b32 v[7:8], v37 offset0:204 offset1:221
	global_store_dword v[5:6], v4, off offset:612
	s_waitcnt lgkmcnt(1)
	global_store_dword v[5:6], v9, off offset:680
	global_store_dword v[5:6], v10, off offset:748
	ds_read2_b32 v[3:4], v37 offset0:238 offset1:255
	v_add_u32_e32 v11, 0x400, v37
	ds_read2_b32 v[9:10], v11 offset0:16 offset1:33
	s_waitcnt lgkmcnt(2)
	global_store_dword v[5:6], v7, off offset:816
	global_store_dword v[5:6], v8, off offset:884
	s_waitcnt lgkmcnt(1)
	global_store_dword v[5:6], v3, off offset:952
	global_store_dword v[5:6], v4, off offset:1020
	ds_read2_b32 v[3:4], v11 offset0:50 offset1:67
	ds_read2_b32 v[7:8], v11 offset0:84 offset1:101
	s_waitcnt lgkmcnt(2)
	global_store_dword v[5:6], v9, off offset:1088
	global_store_dword v[5:6], v10, off offset:1156
	ds_read2_b32 v[9:10], v11 offset0:118 offset1:135
	v_cmp_eq_u32_e32 vcc, 16, v0
	s_waitcnt lgkmcnt(2)
	global_store_dword v[5:6], v3, off offset:1224
	global_store_dword v[5:6], v4, off offset:1292
	s_waitcnt lgkmcnt(1)
	global_store_dword v[5:6], v7, off offset:1360
	global_store_dword v[5:6], v8, off offset:1428
	;; [unrolled: 3-line block ×3, first 2 shown]
	s_and_b64 exec, exec, vcc
	s_cbranch_execz .LBB0_21
; %bb.20:
	ds_read_b32 v0, v37 offset:1568
	s_waitcnt lgkmcnt(0)
	global_store_dword v[1:2], v0, off offset:1632
.LBB0_21:
	s_endpgm
	.section	.rodata,"a",@progbits
	.p2align	6, 0x0
	.amdhsa_kernel fft_rtc_fwd_len408_factors_17_3_8_wgs_51_tpt_17_halfLds_half_ip_CI_unitstride_sbrr_R2C_dirReg
		.amdhsa_group_segment_fixed_size 0
		.amdhsa_private_segment_fixed_size 0
		.amdhsa_kernarg_size 88
		.amdhsa_user_sgpr_count 6
		.amdhsa_user_sgpr_private_segment_buffer 1
		.amdhsa_user_sgpr_dispatch_ptr 0
		.amdhsa_user_sgpr_queue_ptr 0
		.amdhsa_user_sgpr_kernarg_segment_ptr 1
		.amdhsa_user_sgpr_dispatch_id 0
		.amdhsa_user_sgpr_flat_scratch_init 0
		.amdhsa_user_sgpr_private_segment_size 0
		.amdhsa_uses_dynamic_stack 0
		.amdhsa_system_sgpr_private_segment_wavefront_offset 0
		.amdhsa_system_sgpr_workgroup_id_x 1
		.amdhsa_system_sgpr_workgroup_id_y 0
		.amdhsa_system_sgpr_workgroup_id_z 0
		.amdhsa_system_sgpr_workgroup_info 0
		.amdhsa_system_vgpr_workitem_id 0
		.amdhsa_next_free_vgpr 162
		.amdhsa_next_free_sgpr 50
		.amdhsa_reserve_vcc 1
		.amdhsa_reserve_flat_scratch 0
		.amdhsa_float_round_mode_32 0
		.amdhsa_float_round_mode_16_64 0
		.amdhsa_float_denorm_mode_32 3
		.amdhsa_float_denorm_mode_16_64 3
		.amdhsa_dx10_clamp 1
		.amdhsa_ieee_mode 1
		.amdhsa_fp16_overflow 0
		.amdhsa_exception_fp_ieee_invalid_op 0
		.amdhsa_exception_fp_denorm_src 0
		.amdhsa_exception_fp_ieee_div_zero 0
		.amdhsa_exception_fp_ieee_overflow 0
		.amdhsa_exception_fp_ieee_underflow 0
		.amdhsa_exception_fp_ieee_inexact 0
		.amdhsa_exception_int_div_zero 0
	.end_amdhsa_kernel
	.text
.Lfunc_end0:
	.size	fft_rtc_fwd_len408_factors_17_3_8_wgs_51_tpt_17_halfLds_half_ip_CI_unitstride_sbrr_R2C_dirReg, .Lfunc_end0-fft_rtc_fwd_len408_factors_17_3_8_wgs_51_tpt_17_halfLds_half_ip_CI_unitstride_sbrr_R2C_dirReg
                                        ; -- End function
	.section	.AMDGPU.csdata,"",@progbits
; Kernel info:
; codeLenInByte = 18316
; NumSgprs: 54
; NumVgprs: 162
; ScratchSize: 0
; MemoryBound: 0
; FloatMode: 240
; IeeeMode: 1
; LDSByteSize: 0 bytes/workgroup (compile time only)
; SGPRBlocks: 6
; VGPRBlocks: 40
; NumSGPRsForWavesPerEU: 54
; NumVGPRsForWavesPerEU: 162
; Occupancy: 1
; WaveLimiterHint : 1
; COMPUTE_PGM_RSRC2:SCRATCH_EN: 0
; COMPUTE_PGM_RSRC2:USER_SGPR: 6
; COMPUTE_PGM_RSRC2:TRAP_HANDLER: 0
; COMPUTE_PGM_RSRC2:TGID_X_EN: 1
; COMPUTE_PGM_RSRC2:TGID_Y_EN: 0
; COMPUTE_PGM_RSRC2:TGID_Z_EN: 0
; COMPUTE_PGM_RSRC2:TIDIG_COMP_CNT: 0
	.type	__hip_cuid_900b477a84a0ef3,@object ; @__hip_cuid_900b477a84a0ef3
	.section	.bss,"aw",@nobits
	.globl	__hip_cuid_900b477a84a0ef3
__hip_cuid_900b477a84a0ef3:
	.byte	0                               ; 0x0
	.size	__hip_cuid_900b477a84a0ef3, 1

	.ident	"AMD clang version 19.0.0git (https://github.com/RadeonOpenCompute/llvm-project roc-6.4.0 25133 c7fe45cf4b819c5991fe208aaa96edf142730f1d)"
	.section	".note.GNU-stack","",@progbits
	.addrsig
	.addrsig_sym __hip_cuid_900b477a84a0ef3
	.amdgpu_metadata
---
amdhsa.kernels:
  - .args:
      - .actual_access:  read_only
        .address_space:  global
        .offset:         0
        .size:           8
        .value_kind:     global_buffer
      - .offset:         8
        .size:           8
        .value_kind:     by_value
      - .actual_access:  read_only
        .address_space:  global
        .offset:         16
        .size:           8
        .value_kind:     global_buffer
      - .actual_access:  read_only
        .address_space:  global
        .offset:         24
        .size:           8
        .value_kind:     global_buffer
      - .offset:         32
        .size:           8
        .value_kind:     by_value
      - .actual_access:  read_only
        .address_space:  global
        .offset:         40
        .size:           8
        .value_kind:     global_buffer
      - .actual_access:  read_only
        .address_space:  global
        .offset:         48
        .size:           8
        .value_kind:     global_buffer
      - .offset:         56
        .size:           4
        .value_kind:     by_value
      - .actual_access:  read_only
        .address_space:  global
        .offset:         64
        .size:           8
        .value_kind:     global_buffer
      - .actual_access:  read_only
        .address_space:  global
        .offset:         72
        .size:           8
        .value_kind:     global_buffer
      - .address_space:  global
        .offset:         80
        .size:           8
        .value_kind:     global_buffer
    .group_segment_fixed_size: 0
    .kernarg_segment_align: 8
    .kernarg_segment_size: 88
    .language:       OpenCL C
    .language_version:
      - 2
      - 0
    .max_flat_workgroup_size: 51
    .name:           fft_rtc_fwd_len408_factors_17_3_8_wgs_51_tpt_17_halfLds_half_ip_CI_unitstride_sbrr_R2C_dirReg
    .private_segment_fixed_size: 0
    .sgpr_count:     54
    .sgpr_spill_count: 0
    .symbol:         fft_rtc_fwd_len408_factors_17_3_8_wgs_51_tpt_17_halfLds_half_ip_CI_unitstride_sbrr_R2C_dirReg.kd
    .uniform_work_group_size: 1
    .uses_dynamic_stack: false
    .vgpr_count:     162
    .vgpr_spill_count: 0
    .wavefront_size: 64
amdhsa.target:   amdgcn-amd-amdhsa--gfx906
amdhsa.version:
  - 1
  - 2
...

	.end_amdgpu_metadata
